;; amdgpu-corpus repo=zjin-lcf/HeCBench kind=compiled arch=gfx950 opt=O3
	.amdgcn_target "amdgcn-amd-amdhsa--gfx950"
	.amdhsa_code_object_version 6
	.text
	.protected	_Z20kernelUpdateParticlePfS_PKfS1_iff ; -- Begin function _Z20kernelUpdateParticlePfS_PKfS1_iff
	.globl	_Z20kernelUpdateParticlePfS_PKfS1_iff
	.p2align	8
	.type	_Z20kernelUpdateParticlePfS_PKfS1_iff,@function
_Z20kernelUpdateParticlePfS_PKfS1_iff:  ; @_Z20kernelUpdateParticlePfS_PKfS1_iff
; %bb.0:
	s_load_dword s3, s[0:1], 0x3c
	s_load_dwordx4 s[4:7], s[0:1], 0x20
	s_waitcnt lgkmcnt(0)
	s_and_b32 s3, s3, 0xffff
	s_mul_i32 s2, s2, s3
	v_add_u32_e32 v0, s2, v0
	s_mul_i32 s2, s4, 30
	v_cmp_gt_i32_e32 vcc, s2, v0
	s_and_saveexec_b64 s[2:3], vcc
	s_cbranch_execz .LBB0_2
; %bb.1:
	s_load_dwordx8 s[8:15], s[0:1], 0x0
	v_ashrrev_i32_e32 v1, 31, v0
	s_mov_b32 s0, 0x88888889
	v_lshlrev_b64 v[2:3], 2, v[0:1]
	v_mul_hi_i32 v1, v0, s0
	s_waitcnt lgkmcnt(0)
	v_lshl_add_u64 v[4:5], s[12:13], 0, v[2:3]
	v_add_u32_e32 v1, v1, v0
	v_lshl_add_u64 v[6:7], s[8:9], 0, v[2:3]
	global_load_dword v8, v[4:5], off
	global_load_dword v10, v[6:7], off
	v_lshrrev_b32_e32 v4, 31, v1
	v_ashrrev_i32_e32 v1, 4, v1
	v_add_u32_e32 v1, v1, v4
	v_mul_lo_u32 v1, v1, 30
	v_sub_u32_e32 v0, v0, v1
	v_ashrrev_i32_e32 v1, 31, v0
	v_lshl_add_u64 v[0:1], v[0:1], 2, s[14:15]
	global_load_dword v9, v[0:1], off
	v_lshl_add_u64 v[0:1], s[10:11], 0, v[2:3]
	global_load_dword v11, v[0:1], off
	s_mov_b32 s0, s5
	s_mov_b32 s1, s6
	v_mov_b32_e32 v2, 0x3fc00000
	v_pk_mul_f32 v[2:3], s[0:1], v[2:3] op_sel_hi:[1,0]
	s_waitcnt vmcnt(0)
	v_pk_add_f32 v[4:5], v[8:9], v[10:11] op_sel_hi:[1,0] neg_lo:[0,1] neg_hi:[0,1]
	s_nop 0
	v_pk_mul_f32 v[2:3], v[2:3], v[4:5]
	s_nop 0
	v_fma_f32 v2, 0.5, v11, v2
	v_add_f32_e32 v2, v2, v3
	global_store_dword v[0:1], v2, off
	v_add_f32_e32 v0, v10, v2
	global_store_dword v[6:7], v0, off
.LBB0_2:
	s_endpgm
	.section	.rodata,"a",@progbits
	.p2align	6, 0x0
	.amdhsa_kernel _Z20kernelUpdateParticlePfS_PKfS1_iff
		.amdhsa_group_segment_fixed_size 0
		.amdhsa_private_segment_fixed_size 0
		.amdhsa_kernarg_size 304
		.amdhsa_user_sgpr_count 2
		.amdhsa_user_sgpr_dispatch_ptr 0
		.amdhsa_user_sgpr_queue_ptr 0
		.amdhsa_user_sgpr_kernarg_segment_ptr 1
		.amdhsa_user_sgpr_dispatch_id 0
		.amdhsa_user_sgpr_kernarg_preload_length 0
		.amdhsa_user_sgpr_kernarg_preload_offset 0
		.amdhsa_user_sgpr_private_segment_size 0
		.amdhsa_uses_dynamic_stack 0
		.amdhsa_enable_private_segment 0
		.amdhsa_system_sgpr_workgroup_id_x 1
		.amdhsa_system_sgpr_workgroup_id_y 0
		.amdhsa_system_sgpr_workgroup_id_z 0
		.amdhsa_system_sgpr_workgroup_info 0
		.amdhsa_system_vgpr_workitem_id 0
		.amdhsa_next_free_vgpr 12
		.amdhsa_next_free_sgpr 16
		.amdhsa_accum_offset 12
		.amdhsa_reserve_vcc 1
		.amdhsa_float_round_mode_32 0
		.amdhsa_float_round_mode_16_64 0
		.amdhsa_float_denorm_mode_32 3
		.amdhsa_float_denorm_mode_16_64 3
		.amdhsa_dx10_clamp 1
		.amdhsa_ieee_mode 1
		.amdhsa_fp16_overflow 0
		.amdhsa_tg_split 0
		.amdhsa_exception_fp_ieee_invalid_op 0
		.amdhsa_exception_fp_denorm_src 0
		.amdhsa_exception_fp_ieee_div_zero 0
		.amdhsa_exception_fp_ieee_overflow 0
		.amdhsa_exception_fp_ieee_underflow 0
		.amdhsa_exception_fp_ieee_inexact 0
		.amdhsa_exception_int_div_zero 0
	.end_amdhsa_kernel
	.text
.Lfunc_end0:
	.size	_Z20kernelUpdateParticlePfS_PKfS1_iff, .Lfunc_end0-_Z20kernelUpdateParticlePfS_PKfS1_iff
                                        ; -- End function
	.set _Z20kernelUpdateParticlePfS_PKfS1_iff.num_vgpr, 12
	.set _Z20kernelUpdateParticlePfS_PKfS1_iff.num_agpr, 0
	.set _Z20kernelUpdateParticlePfS_PKfS1_iff.numbered_sgpr, 16
	.set _Z20kernelUpdateParticlePfS_PKfS1_iff.num_named_barrier, 0
	.set _Z20kernelUpdateParticlePfS_PKfS1_iff.private_seg_size, 0
	.set _Z20kernelUpdateParticlePfS_PKfS1_iff.uses_vcc, 1
	.set _Z20kernelUpdateParticlePfS_PKfS1_iff.uses_flat_scratch, 0
	.set _Z20kernelUpdateParticlePfS_PKfS1_iff.has_dyn_sized_stack, 0
	.set _Z20kernelUpdateParticlePfS_PKfS1_iff.has_recursion, 0
	.set _Z20kernelUpdateParticlePfS_PKfS1_iff.has_indirect_call, 0
	.section	.AMDGPU.csdata,"",@progbits
; Kernel info:
; codeLenInByte = 276
; TotalNumSgprs: 22
; NumVgprs: 12
; NumAgprs: 0
; TotalNumVgprs: 12
; ScratchSize: 0
; MemoryBound: 0
; FloatMode: 240
; IeeeMode: 1
; LDSByteSize: 0 bytes/workgroup (compile time only)
; SGPRBlocks: 2
; VGPRBlocks: 1
; NumSGPRsForWavesPerEU: 22
; NumVGPRsForWavesPerEU: 12
; AccumOffset: 12
; Occupancy: 8
; WaveLimiterHint : 0
; COMPUTE_PGM_RSRC2:SCRATCH_EN: 0
; COMPUTE_PGM_RSRC2:USER_SGPR: 2
; COMPUTE_PGM_RSRC2:TRAP_HANDLER: 0
; COMPUTE_PGM_RSRC2:TGID_X_EN: 1
; COMPUTE_PGM_RSRC2:TGID_Y_EN: 0
; COMPUTE_PGM_RSRC2:TGID_Z_EN: 0
; COMPUTE_PGM_RSRC2:TIDIG_COMP_CNT: 0
; COMPUTE_PGM_RSRC3_GFX90A:ACCUM_OFFSET: 2
; COMPUTE_PGM_RSRC3_GFX90A:TG_SPLIT: 0
	.text
	.protected	_Z17kernelUpdatePBestPKfPfS1_i ; -- Begin function _Z17kernelUpdatePBestPKfPfS1_i
	.globl	_Z17kernelUpdatePBestPKfPfS1_i
	.p2align	8
	.type	_Z17kernelUpdatePBestPKfPfS1_i,@function
_Z17kernelUpdatePBestPKfPfS1_i:         ; @_Z17kernelUpdatePBestPKfPfS1_i
; %bb.0:
	s_load_dword s3, s[0:1], 0x2c
	s_load_dword s4, s[0:1], 0x18
	s_waitcnt lgkmcnt(0)
	s_and_b32 s3, s3, 0xffff
	s_mul_i32 s2, s2, s3
	v_add_u32_e32 v0, s2, v0
	v_cmp_gt_i32_e32 vcc, s4, v0
	s_and_saveexec_b64 s[2:3], vcc
	s_cbranch_execz .LBB1_154
; %bb.1:
	s_load_dwordx4 s[4:7], s[0:1], 0x0
	v_mul_lo_u32 v0, v0, 30
	v_ashrrev_i32_e32 v1, 31, v0
	v_lshlrev_b64 v[0:1], 2, v[0:1]
	v_mov_b32_e32 v62, 1.0
	s_waitcnt lgkmcnt(0)
	v_lshl_add_u64 v[46:47], s[4:5], 0, v[0:1]
	v_lshl_add_u64 v[60:61], s[6:7], 0, v[0:1]
	global_load_dwordx4 v[12:15], v[46:47], off offset:48
	global_load_dwordx4 v[8:11], v[46:47], off offset:32
	;; [unrolled: 1-line block ×3, first 2 shown]
	global_load_dwordx4 v[0:3], v[46:47], off
	global_load_dwordx4 v[42:45], v[60:61], off offset:48
	global_load_dwordx4 v[38:41], v[60:61], off offset:32
	;; [unrolled: 1-line block ×3, first 2 shown]
	global_load_dwordx4 v[30:33], v[60:61], off
	global_load_dwordx2 v[28:29], v[46:47], off offset:112
	global_load_dwordx4 v[24:27], v[46:47], off offset:96
	global_load_dwordx4 v[20:23], v[46:47], off offset:80
	global_load_dwordx4 v[16:19], v[46:47], off offset:64
	global_load_dwordx2 v[58:59], v[60:61], off offset:112
	global_load_dwordx4 v[54:57], v[60:61], off offset:96
	global_load_dwordx4 v[50:53], v[60:61], off offset:80
                                        ; kill: killed $vgpr46_vgpr47
	s_nop 0
	global_load_dwordx4 v[46:49], v[60:61], off offset:64
	s_brev_b32 s2, 18
	s_waitcnt vmcnt(12)
	v_add_f32_e32 v63, -1.0, v0
	v_fmamk_f32 v62, v63, 0x3e800000, v62
	v_mul_f32_e32 v74, 0x40490e56, v62
	v_and_b32_e32 v75, 0x7fffffff, v74
	v_cmp_nlt_f32_e64 s[10:11], |v74|, s2
                                        ; implicit-def: $vgpr62
                                        ; implicit-def: $vgpr63
	s_and_saveexec_b64 s[2:3], s[10:11]
	s_xor_b64 s[8:9], exec, s[2:3]
	s_cbranch_execz .LBB1_3
; %bb.2:
	v_lshrrev_b32_e32 v62, 23, v75
	v_add_u32_e32 v62, 0xffffff88, v62
	v_not_b32_e32 v63, 63
	v_cmp_lt_u32_e32 vcc, 63, v62
	s_mov_b32 s6, 0xfe5163ab
	v_mov_b32_e32 v65, 0
	v_cndmask_b32_e32 v63, 0, v63, vcc
	v_add_u32_e32 v62, v63, v62
	v_not_b32_e32 v63, 31
	v_cmp_lt_u32_e64 s[2:3], 31, v62
	s_nop 1
	v_cndmask_b32_e64 v64, 0, v63, s[2:3]
	v_add_u32_e32 v62, v64, v62
	v_cmp_lt_u32_e64 s[4:5], 31, v62
	s_nop 1
	v_cndmask_b32_e64 v63, 0, v63, s[4:5]
	v_add_u32_e32 v78, v63, v62
	v_and_b32_e32 v62, 0x7fffff, v75
	v_or_b32_e32 v79, 0x800000, v62
	v_mad_u64_u32 v[62:63], s[6:7], v79, s6, 0
	v_mov_b32_e32 v64, v63
	s_mov_b32 s6, 0x3c439041
	v_mad_u64_u32 v[66:67], s[6:7], v79, s6, v[64:65]
	v_mov_b32_e32 v64, v67
	s_mov_b32 s6, 0xdb629599
	;; [unrolled: 3-line block ×6, first 2 shown]
	v_mad_u64_u32 v[64:65], s[6:7], v79, s6, v[64:65]
	v_cndmask_b32_e32 v63, v76, v70, vcc
	v_cndmask_b32_e32 v64, v64, v72, vcc
	;; [unrolled: 1-line block ×3, first 2 shown]
	v_cndmask_b32_e64 v67, v64, v63, s[2:3]
	v_cndmask_b32_e64 v64, v65, v64, s[2:3]
	v_cndmask_b32_e32 v65, v72, v68, vcc
	v_cndmask_b32_e64 v63, v63, v65, s[2:3]
	v_cndmask_b32_e32 v66, v70, v66, vcc
	v_cndmask_b32_e64 v64, v64, v67, s[4:5]
	v_cndmask_b32_e64 v67, v67, v63, s[4:5]
	v_sub_u32_e32 v69, 32, v78
	v_cndmask_b32_e64 v65, v65, v66, s[2:3]
	v_alignbit_b32 v71, v64, v67, v69
	v_cmp_eq_u32_e64 s[6:7], 0, v78
	v_cndmask_b32_e64 v63, v63, v65, s[4:5]
	v_alignbit_b32 v70, v67, v63, v69
	v_cndmask_b32_e64 v64, v71, v64, s[6:7]
	v_cndmask_b32_e32 v62, v68, v62, vcc
	v_cndmask_b32_e64 v67, v70, v67, s[6:7]
	v_bfe_u32 v72, v64, 29, 1
	v_cndmask_b32_e64 v62, v66, v62, s[2:3]
	v_alignbit_b32 v70, v64, v67, 30
	v_sub_u32_e32 v73, 0, v72
	v_cndmask_b32_e64 v62, v65, v62, s[4:5]
	v_xor_b32_e32 v70, v70, v73
	v_alignbit_b32 v65, v63, v62, v69
	v_cndmask_b32_e64 v63, v65, v63, s[6:7]
	v_ffbh_u32_e32 v66, v70
	v_alignbit_b32 v65, v67, v63, 30
	v_min_u32_e32 v66, 32, v66
	v_alignbit_b32 v62, v63, v62, 30
	v_xor_b32_e32 v65, v65, v73
	v_sub_u32_e32 v67, 31, v66
	v_xor_b32_e32 v62, v62, v73
	v_alignbit_b32 v68, v70, v65, v67
	v_alignbit_b32 v62, v65, v62, v67
	;; [unrolled: 1-line block ×3, first 2 shown]
	v_ffbh_u32_e32 v65, v63
	v_min_u32_e32 v65, 32, v65
	v_lshrrev_b32_e32 v71, 29, v64
	v_not_b32_e32 v67, v65
	v_alignbit_b32 v62, v63, v62, v67
	v_lshlrev_b32_e32 v63, 31, v71
	v_or_b32_e32 v67, 0x33000000, v63
	v_add_lshl_u32 v65, v65, v66, 23
	v_lshrrev_b32_e32 v62, 9, v62
	v_sub_u32_e32 v65, v67, v65
	v_or_b32_e32 v63, 0.5, v63
	v_lshlrev_b32_e32 v66, 23, v66
	v_or_b32_e32 v62, v65, v62
	v_lshrrev_b32_e32 v65, 9, v68
	v_sub_u32_e32 v63, v63, v66
	v_or_b32_e32 v63, v65, v63
	s_mov_b32 s2, 0x3fc90fda
	v_mul_f32_e32 v65, 0x3fc90fda, v63
	v_fma_f32 v66, v63, s2, -v65
	v_fmamk_f32 v63, v63, 0x33a22168, v66
	v_fmac_f32_e32 v63, 0x3fc90fda, v62
	v_lshrrev_b32_e32 v62, 30, v64
	v_add_f32_e32 v63, v65, v63
	v_add_u32_e32 v62, v72, v62
.LBB1_3:
	s_or_saveexec_b64 s[2:3], s[8:9]
	s_load_dwordx2 s[8:9], s[0:1], 0x10
	s_xor_b64 exec, exec, s[2:3]
	s_cbranch_execz .LBB1_5
; %bb.4:
	s_mov_b32 s0, 0x3f22f983
	v_mul_f32_e64 v62, |v74|, s0
	v_rndne_f32_e32 v63, v62
	s_mov_b32 s0, 0xbfc90fda
	v_cvt_i32_f32_e32 v62, v63
	v_fma_f32 v64, v63, s0, |v74|
	v_fmamk_f32 v64, v63, 0xb3a22168, v64
	v_fmamk_f32 v63, v63, 0xa7c234c4, v64
.LBB1_5:
	s_or_b64 exec, exec, s[2:3]
	s_waitcnt vmcnt(7)
	v_add_f32_e32 v64, -1.0, v29
	s_mov_b32 s16, 0x3e800000
	v_fma_f32 v79, v64, s16, 1.0
	v_mul_f32_e32 v64, v63, v63
	v_mov_b32_e32 v72, 0x3c0881c4
	v_fmamk_f32 v65, v64, 0xb94c1982, v72
	v_fmaak_f32 v65, v64, v65, 0xbe2aaa9d
	v_mul_f32_e32 v65, v64, v65
	v_mov_b32_e32 v73, 0xbab64f3b
	v_fmac_f32_e32 v63, v63, v65
	v_fmamk_f32 v65, v64, 0x37d75334, v73
	v_fmaak_f32 v65, v64, v65, 0x3d2aabf7
	v_fmaak_f32 v65, v64, v65, 0xbf000004
	v_fma_f32 v64, v64, v65, 1.0
	v_and_b32_e32 v65, 1, v62
	v_cmp_eq_u32_e32 vcc, 0, v65
	v_lshlrev_b32_e32 v62, 30, v62
	s_brev_b32 s0, 1
	v_cndmask_b32_e32 v63, v64, v63, vcc
	v_bitop3_b32 v62, v75, v62, s0 bitop3:0x78
	v_xor_b32_e32 v62, v62, v63
	s_movk_i32 s17, 0x1f8
	v_xor_b32_e32 v62, v62, v74
	v_mov_b32_e32 v76, 0x7fc00000
	v_cmp_class_f32_e64 vcc, v74, s17
	s_mov_b32 s18, 0x3f2aaaab
                                        ; implicit-def: $vgpr66
                                        ; implicit-def: $vgpr66
	;; [unrolled: 1-line block ×3, first 2 shown]
	v_mov_b32_e32 v77, 0x3e91f4c4
	v_cndmask_b32_e32 v78, v76, v62, vcc
	v_frexp_mant_f32_e64 v62, |v78|
	v_cmp_gt_f32_e64 s[0:1], s18, v62
	s_mov_b32 s19, 0x3f317218
	v_add_f32_e32 v79, -1.0, v79
	v_cndmask_b32_e64 v63, 1.0, 2.0, s[0:1]
	v_mul_f32_e32 v62, v62, v63
	v_add_f32_e32 v65, 1.0, v62
	v_rcp_f32_e32 v70, v65
	v_add_f32_e32 v63, -1.0, v65
	v_sub_f32_e32 v67, v62, v63
	v_add_f32_e32 v63, -1.0, v62
	v_mul_f32_e32 v71, v63, v70
	v_mul_f32_e32 v64, v65, v71
	v_fma_f32 v66, v71, v65, -v64
	v_fmac_f32_e32 v66, v71, v67
	v_add_f32_e32 v62, v64, v66
	v_sub_f32_e32 v65, v63, v62
	v_pk_add_f32 v[68:69], v[62:63], v[64:65] neg_lo:[0,1] neg_hi:[0,1]
	v_mov_b32_e32 v67, v62
	v_pk_add_f32 v[62:63], v[68:69], v[66:67] neg_lo:[0,1] neg_hi:[0,1]
                                        ; implicit-def: $vgpr67
	s_mov_b32 s20, 0x42b17218
	v_add_f32_e32 v62, v62, v63
	v_add_f32_e32 v62, v65, v62
	v_mul_f32_e32 v63, v70, v62
	v_add_f32_e32 v62, v71, v63
	v_sub_f32_e32 v64, v62, v71
	v_sub_f32_e32 v80, v63, v64
	v_mul_f32_e32 v63, v62, v62
	v_fma_f32 v65, v62, v62, -v63
	v_add_f32_e32 v64, v80, v80
	v_fmac_f32_e32 v65, v62, v64
	v_add_f32_e32 v64, v63, v65
	v_fmamk_f32 v66, v64, 0x3e76c4e1, v77
	v_fmaak_f32 v66, v64, v66, 0x3ecccdef
	v_sub_f32_e32 v63, v64, v63
	v_sub_f32_e32 v81, v65, v63
	v_mul_f32_e32 v63, v64, v66
	v_fma_f32 v65, v64, v66, -v63
	v_fmac_f32_e32 v65, v81, v66
	v_add_f32_e32 v66, v63, v65
	v_add_f32_e32 v67, 0x3f2aaaaa, v66
	v_sub_f32_e32 v63, v66, v63
	v_sub_f32_e32 v63, v65, v63
	v_add_f32_e32 v65, 0xbf2aaaaa, v67
	v_add_f32_e32 v63, 0x31739010, v63
	v_sub_f32_e32 v65, v66, v65
	v_pk_mul_f32 v[68:69], v[62:63], v[64:65]
	v_pk_add_f32 v[70:71], v[62:63], v[64:65]
	v_fma_f32 v66, v64, v62, -v68
	v_fmac_f32_e32 v66, v64, v80
	v_mov_b32_e32 v69, v71
	v_fmac_f32_e32 v66, v81, v62
	v_pk_add_f32 v[64:65], v[68:69], v[66:67]
	v_ldexp_f32 v82, v80, 1
	v_sub_f32_e32 v63, v64, v68
	v_sub_f32_e32 v63, v66, v63
	;; [unrolled: 1-line block ×3, first 2 shown]
	v_add_f32_e32 v69, v71, v66
	v_pk_mul_f32 v[66:67], v[64:65], v[64:65] op_sel:[0,1] op_sel_hi:[1,0]
	v_cvt_f64_f32_e64 v[70:71], |v78|
	v_frexp_exp_i32_f64_e32 v67, v[70:71]
	v_subbrev_co_u32_e64 v67, s[0:1], 0, v67, s[0:1]
	v_cvt_f32_i32_e32 v67, v67
	v_fma_f32 v68, v64, v65, -v66
	v_fmac_f32_e32 v68, v64, v69
	v_fmac_f32_e32 v68, v63, v65
	v_mul_f32_e32 v70, 0x3f317218, v67
	v_fma_f32 v64, v67, s19, -v70
	v_fmac_f32_e32 v64, 0xb102e308, v67
	v_ldexp_f32 v65, v62, 1
	v_add_f32_e32 v71, v66, v68
	v_pk_add_f32 v[80:81], v[70:71], v[64:65]
	v_mov_b32_e32 v62, v71
	v_mov_b32_e32 v63, v81
	;; [unrolled: 1-line block ×3, first 2 shown]
	v_pk_add_f32 v[62:63], v[62:63], v[66:67] neg_lo:[0,1] neg_hi:[0,1]
	v_mov_b32_e32 v69, v71
	v_pk_add_f32 v[62:63], v[68:69], v[62:63] neg_lo:[0,1] neg_hi:[0,1]
	v_mov_b32_e32 v65, v80
	v_add_f32_e32 v62, v82, v62
	v_add_f32_e32 v71, v62, v63
	v_pk_add_f32 v[66:67], v[80:81], v[70:71] neg_lo:[0,1] neg_hi:[0,1]
	v_pk_add_f32 v[68:69], v[80:81], v[70:71]
	s_mov_b32 s21, 0x3fb8aa3b
	v_mov_b32_e32 v67, v69
	v_pk_add_f32 v[62:63], v[64:65], v[66:67] neg_lo:[0,1] neg_hi:[0,1]
	v_pk_add_f32 v[64:65], v[64:65], v[66:67]
	s_movk_i32 s22, 0x204
	v_pk_add_f32 v[66:67], v[64:65], v[80:81] op_sel:[1,0] op_sel_hi:[0,1] neg_lo:[0,1] neg_hi:[0,1]
	v_pk_add_f32 v[82:83], v[68:69], v[66:67] op_sel_hi:[1,0] neg_lo:[0,1] neg_hi:[0,1]
	v_mov_b32_e32 v64, v69
	v_pk_mov_b32 v[66:67], v[80:81], v[66:67] op_sel:[1,0]
	v_mov_b32_e32 v68, v71
	v_pk_add_f32 v[66:67], v[64:65], v[66:67] neg_lo:[0,1] neg_hi:[0,1]
	v_mov_b32_e32 v69, v80
	v_frexp_mant_f32_e64 v64, |v79|
	v_pk_add_f32 v[66:67], v[68:69], v[66:67] neg_lo:[0,1] neg_hi:[0,1]
	v_mov_b32_e32 v82, v62
	v_cmp_gt_f32_e64 s[0:1], s18, v64
	v_pk_add_f32 v[68:69], v[82:83], v[66:67]
	v_mov_b32_e32 v63, v65
	v_cndmask_b32_e64 v67, 1.0, 2.0, s[0:1]
	v_mul_f32_e32 v64, v64, v67
	v_add_f32_e32 v67, 1.0, v64
	v_rcp_f32_e32 v86, v67
	v_add_f32_e32 v70, -1.0, v67
	v_add_f32_e32 v71, -1.0, v64
	v_sub_f32_e32 v70, v64, v70
	v_mul_f32_e32 v64, v71, v86
	v_mul_f32_e32 v80, v67, v64
	v_fma_f32 v82, v64, v67, -v80
	v_fmac_f32_e32 v82, v64, v70
	v_add_f32_e32 v70, v80, v82
	v_sub_f32_e32 v81, v71, v70
	v_pk_add_f32 v[84:85], v[70:71], v[80:81] neg_lo:[0,1] neg_hi:[0,1]
	v_mov_b32_e32 v83, v70
	v_pk_add_f32 v[70:71], v[84:85], v[82:83] neg_lo:[0,1] neg_hi:[0,1]
	s_mov_b32 s23, 0xc2ce8ed0
	v_add_f32_e32 v67, v70, v71
	v_add_f32_e32 v67, v81, v67
	v_mul_f32_e32 v67, v86, v67
	v_add_f32_e32 v70, v64, v67
	v_sub_f32_e32 v64, v70, v64
	v_sub_f32_e32 v64, v67, v64
	v_mul_f32_e32 v67, v70, v70
	v_fma_f32 v71, v70, v70, -v67
	v_add_f32_e32 v80, v64, v64
	v_fmac_f32_e32 v71, v70, v80
	v_add_f32_e32 v80, v67, v71
	v_fmamk_f32 v81, v80, 0x3e76c4e1, v77
	v_fmaak_f32 v81, v80, v81, 0x3ecccdef
	v_sub_f32_e32 v67, v80, v67
	v_sub_f32_e32 v67, v71, v67
	v_mul_f32_e32 v71, v80, v81
	v_fma_f32 v82, v80, v81, -v71
	v_fmac_f32_e32 v82, v67, v81
	v_add_f32_e32 v81, v71, v82
	v_add_f32_e32 v83, 0x3f2aaaaa, v81
	v_sub_f32_e32 v71, v81, v71
	v_sub_f32_e32 v71, v82, v71
	v_add_f32_e32 v82, 0xbf2aaaaa, v83
	v_add_f32_e32 v71, 0x31739010, v71
	v_sub_f32_e32 v81, v81, v82
	v_pk_mul_f32 v[84:85], v[70:71], v[80:81]
	v_pk_add_f32 v[86:87], v[70:71], v[80:81]
	v_fma_f32 v82, v80, v70, -v84
	v_fmac_f32_e32 v82, v80, v64
	v_mov_b32_e32 v85, v87
	v_fmac_f32_e32 v82, v67, v70
	v_pk_add_f32 v[80:81], v[84:85], v[82:83]
	v_ldexp_f32 v64, v64, 1
	v_sub_f32_e32 v67, v80, v84
	v_sub_f32_e32 v67, v82, v67
	;; [unrolled: 1-line block ×3, first 2 shown]
	v_pk_mul_f32 v[82:83], v[80:81], v[80:81] op_sel:[0,1] op_sel_hi:[1,0]
	v_cvt_f64_f32_e64 v[84:85], |v79|
	v_frexp_exp_i32_f64_e32 v83, v[84:85]
	v_subbrev_co_u32_e64 v83, s[0:1], 0, v83, s[0:1]
	v_cvt_f32_i32_e32 v83, v83
	v_add_f32_e32 v71, v87, v71
	v_fma_f32 v84, v80, v81, -v82
	v_fmac_f32_e32 v84, v80, v71
	v_mul_f32_e32 v80, 0x3f317218, v83
	v_fmac_f32_e32 v84, v67, v81
	v_fma_f32 v86, v83, s19, -v80
	v_fmac_f32_e32 v86, 0xb102e308, v83
	v_ldexp_f32 v87, v70, 1
	v_add_f32_e32 v81, v82, v84
	v_pk_add_f32 v[70:71], v[80:81], v[86:87]
	v_mov_b32_e32 v88, v81
	v_mov_b32_e32 v89, v71
	;; [unrolled: 1-line block ×3, first 2 shown]
	v_pk_add_f32 v[82:83], v[88:89], v[82:83] neg_lo:[0,1] neg_hi:[0,1]
	v_mov_b32_e32 v85, v81
	v_pk_add_f32 v[82:83], v[84:85], v[82:83] neg_lo:[0,1] neg_hi:[0,1]
	v_mov_b32_e32 v87, v70
	v_add_f32_e32 v64, v64, v82
	v_add_f32_e32 v81, v64, v83
	v_pk_add_f32 v[82:83], v[70:71], v[80:81] neg_lo:[0,1] neg_hi:[0,1]
	v_pk_add_f32 v[84:85], v[70:71], v[80:81]
	v_mov_b32_e32 v80, v81
	v_mov_b32_e32 v83, v85
	v_pk_add_f32 v[88:89], v[86:87], v[82:83] neg_lo:[0,1] neg_hi:[0,1]
	v_pk_add_f32 v[82:83], v[86:87], v[82:83]
	v_mov_b32_e32 v81, v70
	v_pk_add_f32 v[86:87], v[82:83], v[70:71] op_sel:[1,0] op_sel_hi:[0,1] neg_lo:[0,1] neg_hi:[0,1]
	v_pk_add_f32 v[90:91], v[84:85], v[86:87] op_sel_hi:[1,0] neg_lo:[0,1] neg_hi:[0,1]
	v_mov_b32_e32 v82, v85
	v_pk_mov_b32 v[84:85], v[70:71], v[86:87] op_sel:[1,0]
	v_mov_b32_e32 v90, v88
	v_pk_add_f32 v[84:85], v[82:83], v[84:85] neg_lo:[0,1] neg_hi:[0,1]
	v_mov_b32_e32 v87, v68
	v_pk_add_f32 v[80:81], v[80:81], v[84:85] neg_lo:[0,1] neg_hi:[0,1]
	v_mov_b32_e32 v64, v83
	v_pk_add_f32 v[84:85], v[90:91], v[80:81]
	v_mov_b32_e32 v91, v69
	v_mov_b32_e32 v86, v84
	;; [unrolled: 1-line block ×3, first 2 shown]
	v_pk_add_f32 v[90:91], v[86:87], v[90:91]
	v_mov_b32_e32 v89, v83
	v_pk_add_f32 v[64:65], v[64:65], v[90:91]
	v_mov_b32_e32 v67, v91
	v_mov_b32_e32 v69, v65
	;; [unrolled: 1-line block ×3, first 2 shown]
	v_pk_add_f32 v[68:69], v[68:69], v[62:63] neg_lo:[0,1] neg_hi:[0,1]
	v_pk_add_f32 v[82:83], v[84:85], v[88:89] neg_lo:[0,1] neg_hi:[0,1]
	v_mov_b32_e32 v85, v68
	v_mov_b32_e32 v84, v82
	v_pk_add_f32 v[66:67], v[66:67], v[68:69] neg_lo:[0,1] neg_hi:[0,1]
	v_pk_add_f32 v[68:69], v[86:87], v[84:85] neg_lo:[0,1] neg_hi:[0,1]
	v_mov_b32_e32 v89, v62
	v_mov_b32_e32 v81, v90
	;; [unrolled: 4-line block ×3, first 2 shown]
	v_pk_add_f32 v[62:63], v[80:81], v[62:63]
	v_mov_b32_e32 v66, v69
	v_cmp_eq_f32_e64 s[0:1], 1.0, v78
	v_pk_add_f32 v[62:63], v[62:63], v[66:67]
	v_mov_b32_e32 v82, 0x204
	v_cndmask_b32_e64 v71, 2.0, 1.0, s[0:1]
	v_cmp_eq_f32_e64 s[0:1], 1.0, v79
	v_pk_add_f32 v[66:67], v[64:65], v[62:63]
	v_trunc_f32_e32 v84, v71
	v_cndmask_b32_e64 v70, 2.0, 1.0, s[0:1]
	v_pk_add_f32 v[64:65], v[66:67], v[64:65] neg_lo:[0,1] neg_hi:[0,1]
	s_brev_b32 s25, -2
	v_pk_add_f32 v[62:63], v[62:63], v[64:65] neg_lo:[0,1] neg_hi:[0,1]
	v_pk_mul_f32 v[64:65], v[70:71], v[66:67]
	v_cmp_class_f32_e64 s[14:15], v78, s22
	v_fma_f32 v67, v71, v67, -v65
	v_fmac_f32_e32 v67, v71, v63
	v_add_f32_e32 v63, v65, v67
	v_cmp_class_f32_e64 s[0:1], v65, v82
	v_sub_f32_e32 v68, v63, v65
	v_sub_f32_e32 v81, v67, v68
	v_cndmask_b32_e64 v83, v63, v65, s[0:1]
	v_fma_f32 v63, v70, v66, -v64
	v_fmac_f32_e32 v63, v70, v62
	v_add_f32_e32 v62, v64, v63
	v_cmp_class_f32_e64 s[0:1], v64, v82
	v_sub_f32_e32 v65, v62, v64
	v_mov_b32_e32 v66, 0x37000000
	v_cndmask_b32_e64 v64, v62, v64, s[0:1]
	v_cmp_eq_f32_e64 s[0:1], s20, v83
	v_sub_f32_e32 v65, v63, v65
	v_cmp_class_f32_e64 s[12:13], v79, s22
	v_cndmask_b32_e64 v63, 0, v66, s[0:1]
	v_sub_f32_e32 v68, v83, v63
	v_mul_f32_e32 v62, 0x3fb8aa3b, v68
	v_fma_f32 v67, v68, s21, -v62
	v_rndne_f32_e32 v69, v62
	v_fmac_f32_e32 v67, 0x32a5705f, v68
	v_sub_f32_e32 v62, v62, v69
	v_add_f32_e32 v62, v62, v67
	v_exp_f32_e32 v67, v62
	v_cvt_i32_f32_e32 v69, v69
	v_cmp_class_f32_e64 s[0:1], v64, s22
	s_mov_b32 s24, 0x7f800000
	s_brev_b32 s26, 18
	v_cndmask_b32_e64 v62, v65, 0, s[0:1]
	v_ldexp_f32 v65, v67, v69
	v_cmp_ngt_f32_e64 s[0:1], s23, v68
	v_mov_b32_e32 v67, 0x7f800000
	s_mov_b32 s27, 0xfe5163ab
	v_cndmask_b32_e64 v65, 0, v65, s[0:1]
	v_cmp_nlt_f32_e64 s[0:1], s20, v68
	v_pk_mul_f32 v[68:69], v[70:71], 0.5 op_sel_hi:[1,0]
	s_mov_b32 s28, 0x3c439041
	v_cndmask_b32_e64 v65, v67, v65, s[0:1]
	v_cmp_eq_f32_e64 s[0:1], s20, v64
	v_trunc_f32_e32 v85, v69
	v_cmp_neq_f32_e64 s[6:7], v85, v69
	v_cndmask_b32_e64 v80, 0, v66, s[0:1]
	v_sub_f32_e32 v64, v64, v80
	v_mul_f32_e32 v86, 0x3fb8aa3b, v64
	v_fma_f32 v87, v64, s21, -v86
	v_rndne_f32_e32 v88, v86
	v_fmac_f32_e32 v87, 0x32a5705f, v64
	v_sub_f32_e32 v86, v86, v88
	v_add_f32_e32 v86, v86, v87
	v_exp_f32_e32 v86, v86
	v_cvt_i32_f32_e32 v87, v88
	v_cmp_class_f32_e64 s[0:1], v83, s22
	s_mov_b32 s29, 0xdb629599
	s_mov_b32 s30, 0xf534ddc0
	v_cndmask_b32_e64 v81, v81, 0, s[0:1]
	v_pk_add_f32 v[62:63], v[62:63], v[80:81]
	v_ldexp_f32 v80, v86, v87
	v_cmp_ngt_f32_e64 s[0:1], s23, v64
	s_mov_b32 s31, 0xfc2757d1
	s_mov_b32 s33, 0x4e441529
	v_cndmask_b32_e64 v80, 0, v80, s[0:1]
	v_cmp_nlt_f32_e64 s[0:1], s20, v64
	s_mov_b32 s34, 0xa2f9836e
	s_mov_b32 s35, 0x3fc90fda
	v_cndmask_b32_e64 v64, v67, v80, s[0:1]
	v_pk_fma_f32 v[62:63], v[64:65], v[62:63], v[64:65]
	v_cmp_class_f32_e64 s[0:1], v64, v82
	s_mov_b32 s36, 0x3f22f983
	s_mov_b32 s37, 0xbfc90fda
	v_cndmask_b32_e64 v62, v62, v64, s[0:1]
	v_cmp_class_f32_e64 s[0:1], v65, v82
	v_trunc_f32_e32 v64, v70
	v_cmp_eq_f32_e64 s[2:3], v64, v70
	v_cndmask_b32_e64 v63, v63, v65, s[0:1]
	v_cmp_eq_f32_e64 s[0:1], v84, v71
	v_trunc_f32_e32 v64, v68
	v_cmp_neq_f32_e64 s[4:5], v64, v68
	s_and_b64 s[6:7], s[0:1], s[6:7]
	v_cndmask_b32_e64 v64, 1.0, v78, s[6:7]
	s_and_b64 s[4:5], s[2:3], s[4:5]
	v_cndmask_b32_e64 v65, 1.0, v79, s[4:5]
	v_bfi_b32 v63, s25, v63, v64
	v_bfi_b32 v62, s25, v62, v65
	v_cndmask_b32_e64 v65, v76, v63, s[0:1]
	v_cmp_gt_f32_e64 s[0:1], 0, v78
	v_cndmask_b32_e64 v64, v76, v62, s[2:3]
	v_cmp_eq_f32_e64 s[2:3], 0, v79
	v_cndmask_b32_e64 v63, v63, v65, s[0:1]
	v_cmp_gt_f32_e64 s[0:1], 0, v79
	v_cndmask_b32_e64 v68, 0, v78, s[6:7]
	v_cndmask_b32_e64 v65, v67, 0, s[2:3]
	v_cndmask_b32_e64 v62, v62, v64, s[0:1]
	v_cmp_eq_f32_e64 s[0:1], 0, v78
	v_cndmask_b32_e64 v69, 0, v79, s[4:5]
	v_bfi_b32 v65, s25, v65, v69
	v_cndmask_b32_e64 v64, v67, 0, s[0:1]
	v_bfi_b32 v64, s25, v64, v68
	s_or_b64 s[0:1], s[0:1], s[14:15]
	s_or_b64 s[2:3], s[12:13], s[2:3]
	v_cndmask_b32_e64 v63, v63, v64, s[0:1]
	v_cmp_o_f32_e64 s[0:1], v78, v78
	v_cndmask_b32_e64 v62, v62, v65, s[2:3]
	s_mov_b64 s[12:13], 1
	v_cndmask_b32_e64 v63, v76, v63, s[0:1]
	v_cmp_o_f32_e64 s[0:1], v79, v79
	v_mov_b32_e32 v65, 0
	s_mov_b32 s38, 0x41200000
	v_cndmask_b32_e64 v62, v76, v62, s[0:1]
	v_add_f32_e32 v63, v62, v63
	v_not_b32_e32 v68, 63
	v_not_b32_e32 v69, 31
	s_branch .LBB1_7
.LBB1_6:                                ;   in Loop: Header=BB1_7 Depth=1
	s_or_b64 exec, exec, s[0:1]
	s_add_i32 s0, s12, -1
	s_set_gpr_idx_on s0, gpr_idx(SRC0)
	v_mov_b32_e32 v79, v0
	s_set_gpr_idx_off
	v_add_f32_e32 v79, -1.0, v79
	v_fma_f32 v79, v79, s16, 1.0
	v_add_f32_e32 v79, -1.0, v79
	v_cmp_eq_f32_e64 s[0:1], 1.0, v79
	v_frexp_mant_f32_e64 v80, |v79|
	v_cmp_class_f32_e64 s[4:5], v79, s22
	v_cndmask_b32_e64 v94, 2.0, 1.0, s[0:1]
	v_cmp_gt_f32_e64 s[0:1], s18, v80
	v_xor_b32_e32 v71, v71, v70
	s_nop 0
	v_cndmask_b32_e64 v81, 1.0, 2.0, s[0:1]
	v_mul_f32_e32 v80, v80, v81
	v_add_f32_e32 v83, 1.0, v80
	v_rcp_f32_e32 v88, v83
	v_add_f32_e32 v81, -1.0, v83
	v_sub_f32_e32 v85, v80, v81
	v_add_f32_e32 v81, -1.0, v80
	v_mul_f32_e32 v89, v81, v88
	v_mul_f32_e32 v82, v83, v89
	v_fma_f32 v84, v89, v83, -v82
	v_fmac_f32_e32 v84, v89, v85
	v_add_f32_e32 v80, v82, v84
	v_sub_f32_e32 v83, v81, v80
	v_pk_add_f32 v[86:87], v[80:81], v[82:83] neg_lo:[0,1] neg_hi:[0,1]
	v_mov_b32_e32 v85, v80
	v_pk_add_f32 v[80:81], v[86:87], v[84:85] neg_lo:[0,1] neg_hi:[0,1]
	s_nop 0
	v_add_f32_e32 v80, v80, v81
	v_add_f32_e32 v80, v83, v80
	v_mul_f32_e32 v81, v88, v80
	v_add_f32_e32 v80, v89, v81
	v_sub_f32_e32 v82, v80, v89
	v_sub_f32_e32 v90, v81, v82
	v_mul_f32_e32 v81, v80, v80
	v_fma_f32 v83, v80, v80, -v81
	v_add_f32_e32 v82, v90, v90
	v_fmac_f32_e32 v83, v80, v82
	v_add_f32_e32 v82, v81, v83
	v_fmamk_f32 v84, v82, 0x3e76c4e1, v77
	v_fmaak_f32 v84, v82, v84, 0x3ecccdef
	v_sub_f32_e32 v81, v82, v81
	v_sub_f32_e32 v91, v83, v81
	v_mul_f32_e32 v81, v82, v84
	v_fma_f32 v83, v82, v84, -v81
	v_fmac_f32_e32 v83, v91, v84
	v_add_f32_e32 v84, v81, v83
	v_add_f32_e32 v85, 0x3f2aaaaa, v84
	v_sub_f32_e32 v81, v84, v81
	v_sub_f32_e32 v81, v83, v81
	v_add_f32_e32 v83, 0xbf2aaaaa, v85
	v_add_f32_e32 v81, 0x31739010, v81
	v_sub_f32_e32 v83, v84, v83
	v_pk_mul_f32 v[86:87], v[80:81], v[82:83]
	v_pk_add_f32 v[88:89], v[80:81], v[82:83]
	v_fma_f32 v84, v82, v80, -v86
	v_fmac_f32_e32 v84, v82, v90
	v_mov_b32_e32 v87, v89
	v_fmac_f32_e32 v84, v91, v80
	v_pk_add_f32 v[82:83], v[86:87], v[84:85]
	v_ldexp_f32 v92, v90, 1
	v_sub_f32_e32 v81, v82, v86
	v_sub_f32_e32 v81, v84, v81
	;; [unrolled: 1-line block ×3, first 2 shown]
	v_add_f32_e32 v88, v89, v84
	v_pk_mul_f32 v[84:85], v[82:83], v[82:83] op_sel:[0,1] op_sel_hi:[1,0]
	v_cvt_f64_f32_e64 v[86:87], |v79|
	v_frexp_exp_i32_f64_e32 v85, v[86:87]
	v_subbrev_co_u32_e64 v85, s[0:1], 0, v85, s[0:1]
	v_cvt_f32_i32_e32 v85, v85
	v_fma_f32 v86, v82, v83, -v84
	v_fmac_f32_e32 v86, v82, v88
	v_fmac_f32_e32 v86, v81, v83
	v_mul_f32_e32 v82, 0x3f317218, v85
	v_fma_f32 v88, v85, s19, -v82
	v_fmac_f32_e32 v88, 0xb102e308, v85
	v_ldexp_f32 v89, v80, 1
	v_add_f32_e32 v83, v84, v86
	v_pk_add_f32 v[80:81], v[82:83], v[88:89]
	v_mov_b32_e32 v90, v83
	v_mov_b32_e32 v91, v81
	;; [unrolled: 1-line block ×3, first 2 shown]
	v_pk_add_f32 v[84:85], v[90:91], v[84:85] neg_lo:[0,1] neg_hi:[0,1]
	v_mov_b32_e32 v87, v83
	v_pk_add_f32 v[84:85], v[86:87], v[84:85] neg_lo:[0,1] neg_hi:[0,1]
	v_mov_b32_e32 v89, v80
	v_add_f32_e32 v83, v92, v84
	v_add_f32_e32 v83, v83, v85
	v_pk_add_f32 v[84:85], v[80:81], v[82:83] neg_lo:[0,1] neg_hi:[0,1]
	v_pk_add_f32 v[86:87], v[80:81], v[82:83]
	v_mov_b32_e32 v82, v83
	v_mov_b32_e32 v85, v87
	v_pk_add_f32 v[90:91], v[88:89], v[84:85] neg_lo:[0,1] neg_hi:[0,1]
	v_pk_add_f32 v[84:85], v[88:89], v[84:85]
	v_mov_b32_e32 v83, v80
	v_pk_add_f32 v[88:89], v[84:85], v[80:81] op_sel:[1,0] op_sel_hi:[0,1] neg_lo:[0,1] neg_hi:[0,1]
	v_pk_add_f32 v[92:93], v[86:87], v[88:89] op_sel_hi:[1,0] neg_lo:[0,1] neg_hi:[0,1]
	v_mov_b32_e32 v86, v87
	v_mov_b32_e32 v87, v85
	v_pk_mov_b32 v[88:89], v[80:81], v[88:89] op_sel:[1,0]
	v_mov_b32_e32 v92, v90
	v_pk_add_f32 v[86:87], v[86:87], v[88:89] neg_lo:[0,1] neg_hi:[0,1]
	v_mov_b32_e32 v91, v85
	v_pk_add_f32 v[80:81], v[82:83], v[86:87] neg_lo:[0,1] neg_hi:[0,1]
	s_nop 0
	v_pk_add_f32 v[82:83], v[92:93], v[80:81]
	s_nop 0
	v_pk_add_f32 v[86:87], v[82:83], v[82:83] op_sel:[0,1] op_sel_hi:[1,0]
	s_nop 0
	v_pk_add_f32 v[84:85], v[84:85], v[86:87] op_sel:[1,0] op_sel_hi:[0,1]
	v_mov_b32_e32 v83, v84
	v_pk_add_f32 v[88:89], v[82:83], v[90:91] neg_lo:[0,1] neg_hi:[0,1]
	v_mov_b32_e32 v81, v86
	v_sub_f32_e32 v82, v82, v88
	v_pk_add_f32 v[80:81], v[80:81], v[88:89] neg_lo:[0,1] neg_hi:[0,1]
	v_sub_f32_e32 v82, v90, v82
	v_add_f32_e32 v80, v80, v82
	v_add_f32_e32 v80, v80, v81
	;; [unrolled: 1-line block ×3, first 2 shown]
	v_sub_f32_e32 v82, v81, v84
	v_sub_f32_e32 v80, v80, v82
	v_mul_f32_e32 v82, v94, v81
	v_fma_f32 v81, v94, v81, -v82
	v_fmac_f32_e32 v81, v94, v80
	v_add_f32_e32 v80, v82, v81
	v_cmp_class_f32_e64 s[0:1], v82, s22
	v_sub_f32_e32 v83, v80, v82
	v_sub_f32_e32 v81, v81, v83
	v_cndmask_b32_e64 v80, v80, v82, s[0:1]
	v_cmp_eq_f32_e64 s[0:1], s20, v80
	s_nop 1
	v_cndmask_b32_e64 v82, 0, v66, s[0:1]
	v_sub_f32_e32 v83, v80, v82
	v_mul_f32_e32 v84, 0x3fb8aa3b, v83
	v_fma_f32 v85, v83, s21, -v84
	v_rndne_f32_e32 v86, v84
	v_fmac_f32_e32 v85, 0x32a5705f, v83
	v_sub_f32_e32 v84, v84, v86
	v_add_f32_e32 v84, v84, v85
	v_exp_f32_e32 v84, v84
	v_cvt_i32_f32_e32 v85, v86
	v_cmp_neq_f32_e64 s[0:1], |v80|, s24
	s_nop 1
	v_cndmask_b32_e64 v80, 0, v81, s[0:1]
	v_ldexp_f32 v81, v84, v85
	v_cmp_ngt_f32_e64 s[0:1], s23, v83
	v_add_f32_e32 v80, v82, v80
	s_nop 0
	v_cndmask_b32_e64 v81, 0, v81, s[0:1]
	v_cmp_nlt_f32_e64 s[0:1], s20, v83
	s_nop 1
	v_cndmask_b32_e64 v81, v67, v81, s[0:1]
	v_fma_f32 v80, v81, v80, v81
	v_cmp_class_f32_e64 s[0:1], v81, s22
	s_nop 1
	v_cndmask_b32_e64 v80, v80, v81, s[0:1]
	v_trunc_f32_e32 v81, v94
	v_cmp_eq_f32_e64 s[0:1], v81, v94
	v_mul_f32_e32 v81, 0.5, v94
	v_trunc_f32_e32 v82, v81
	v_cmp_neq_f32_e64 s[2:3], v82, v81
	s_and_b64 s[2:3], s[0:1], s[2:3]
	s_nop 0
	v_cndmask_b32_e64 v81, 1.0, v79, s[2:3]
	v_bfi_b32 v80, s25, v80, v81
	v_cndmask_b32_e64 v81, v76, v80, s[0:1]
	v_cmp_gt_f32_e64 s[0:1], 0, v79
	v_cndmask_b32_e64 v82, 0, v79, s[2:3]
	s_nop 0
	v_cndmask_b32_e64 v80, v80, v81, s[0:1]
	v_cmp_eq_f32_e64 s[0:1], 0, v79
	s_nop 1
	v_cndmask_b32_e64 v81, v67, 0, s[0:1]
	v_bfi_b32 v81, s25, v81, v82
	s_or_b64 s[0:1], s[0:1], s[4:5]
	v_cndmask_b32_e64 v80, v80, v81, s[0:1]
	v_cmp_o_f32_e64 s[0:1], v79, v79
	v_mul_f32_e32 v79, v78, v78
	s_nop 0
	v_cndmask_b32_e64 v90, v76, v80, s[0:1]
	v_fmamk_f32 v80, v79, 0xb94c1982, v72
	v_fmaak_f32 v80, v79, v80, 0xbe2aaa9d
	v_mul_f32_e32 v80, v79, v80
	v_fmac_f32_e32 v78, v78, v80
	v_fmamk_f32 v80, v79, 0x37d75334, v73
	v_fmaak_f32 v80, v79, v80, 0x3d2aabf7
	v_fmaak_f32 v80, v79, v80, 0xbf000004
	v_fma_f32 v79, v79, v80, 1.0
	v_and_b32_e32 v80, 1, v64
	v_lshlrev_b32_e32 v64, 30, v64
	v_cmp_eq_u32_e64 s[0:1], 0, v80
	v_and_b32_e32 v64, 0x80000000, v64
	v_xor_b32_e32 v64, v71, v64
	v_cndmask_b32_e64 v78, v79, v78, s[0:1]
	v_xor_b32_e32 v64, v64, v78
	v_cmp_class_f32_e64 s[0:1], v70, s17
	s_nop 1
	v_cndmask_b32_e64 v64, v76, v64, s[0:1]
	v_cmp_eq_f32_e64 s[0:1], 1.0, v64
	v_frexp_mant_f32_e64 v70, |v64|
	v_cmp_class_f32_e64 s[4:5], v64, s22
	v_cndmask_b32_e64 v91, 2.0, 1.0, s[0:1]
	v_cmp_gt_f32_e64 s[0:1], s18, v70
	s_nop 1
	v_cndmask_b32_e64 v71, 1.0, 2.0, s[0:1]
	v_mul_f32_e32 v70, v70, v71
	v_add_f32_e32 v79, 1.0, v70
	v_rcp_f32_e32 v84, v79
	v_add_f32_e32 v71, -1.0, v79
	v_sub_f32_e32 v81, v70, v71
	v_add_f32_e32 v71, -1.0, v70
	v_mul_f32_e32 v85, v71, v84
	v_mul_f32_e32 v78, v79, v85
	v_fma_f32 v80, v85, v79, -v78
	v_fmac_f32_e32 v80, v85, v81
	v_add_f32_e32 v70, v78, v80
	v_sub_f32_e32 v79, v71, v70
	v_pk_add_f32 v[82:83], v[70:71], v[78:79] neg_lo:[0,1] neg_hi:[0,1]
	v_mov_b32_e32 v81, v70
	v_pk_add_f32 v[70:71], v[82:83], v[80:81] neg_lo:[0,1] neg_hi:[0,1]
	s_nop 0
	v_add_f32_e32 v70, v70, v71
	v_add_f32_e32 v70, v79, v70
	v_mul_f32_e32 v71, v84, v70
	v_add_f32_e32 v70, v85, v71
	v_sub_f32_e32 v78, v70, v85
	v_sub_f32_e32 v86, v71, v78
	v_mul_f32_e32 v71, v70, v70
	v_fma_f32 v79, v70, v70, -v71
	v_add_f32_e32 v78, v86, v86
	v_fmac_f32_e32 v79, v70, v78
	v_add_f32_e32 v78, v71, v79
	v_fmamk_f32 v80, v78, 0x3e76c4e1, v77
	v_fmaak_f32 v80, v78, v80, 0x3ecccdef
	v_sub_f32_e32 v71, v78, v71
	v_sub_f32_e32 v87, v79, v71
	v_mul_f32_e32 v71, v78, v80
	v_fma_f32 v79, v78, v80, -v71
	v_fmac_f32_e32 v79, v87, v80
	v_add_f32_e32 v80, v71, v79
	v_add_f32_e32 v81, 0x3f2aaaaa, v80
	v_sub_f32_e32 v71, v80, v71
	v_sub_f32_e32 v71, v79, v71
	v_add_f32_e32 v79, 0xbf2aaaaa, v81
	v_add_f32_e32 v71, 0x31739010, v71
	v_sub_f32_e32 v79, v80, v79
	v_pk_mul_f32 v[82:83], v[70:71], v[78:79]
	v_pk_add_f32 v[84:85], v[70:71], v[78:79]
	v_fma_f32 v80, v78, v70, -v82
	v_fmac_f32_e32 v80, v78, v86
	v_mov_b32_e32 v83, v85
	v_fmac_f32_e32 v80, v87, v70
	v_pk_add_f32 v[78:79], v[82:83], v[80:81]
	v_ldexp_f32 v88, v86, 1
	v_sub_f32_e32 v71, v78, v82
	v_sub_f32_e32 v71, v80, v71
	;; [unrolled: 1-line block ×3, first 2 shown]
	v_add_f32_e32 v84, v85, v80
	v_pk_mul_f32 v[80:81], v[78:79], v[78:79] op_sel:[0,1] op_sel_hi:[1,0]
	v_cvt_f64_f32_e64 v[82:83], |v64|
	v_frexp_exp_i32_f64_e32 v81, v[82:83]
	v_subbrev_co_u32_e64 v81, s[0:1], 0, v81, s[0:1]
	v_cvt_f32_i32_e32 v81, v81
	v_fma_f32 v82, v78, v79, -v80
	v_fmac_f32_e32 v82, v78, v84
	v_fmac_f32_e32 v82, v71, v79
	v_mul_f32_e32 v78, 0x3f317218, v81
	v_fma_f32 v84, v81, s19, -v78
	v_fmac_f32_e32 v84, 0xb102e308, v81
	v_ldexp_f32 v85, v70, 1
	v_add_f32_e32 v79, v80, v82
	v_pk_add_f32 v[70:71], v[78:79], v[84:85]
	v_mov_b32_e32 v86, v79
	v_mov_b32_e32 v87, v71
	;; [unrolled: 1-line block ×3, first 2 shown]
	v_pk_add_f32 v[80:81], v[86:87], v[80:81] neg_lo:[0,1] neg_hi:[0,1]
	v_mov_b32_e32 v83, v79
	v_pk_add_f32 v[80:81], v[82:83], v[80:81] neg_lo:[0,1] neg_hi:[0,1]
	v_mov_b32_e32 v85, v70
	v_add_f32_e32 v79, v88, v80
	v_add_f32_e32 v79, v79, v81
	v_pk_add_f32 v[80:81], v[70:71], v[78:79] neg_lo:[0,1] neg_hi:[0,1]
	v_pk_add_f32 v[82:83], v[70:71], v[78:79]
	v_mov_b32_e32 v78, v79
	v_mov_b32_e32 v81, v83
	v_pk_add_f32 v[86:87], v[84:85], v[80:81] neg_lo:[0,1] neg_hi:[0,1]
	v_pk_add_f32 v[80:81], v[84:85], v[80:81]
	v_mov_b32_e32 v79, v70
	v_pk_add_f32 v[84:85], v[80:81], v[70:71] op_sel:[1,0] op_sel_hi:[0,1] neg_lo:[0,1] neg_hi:[0,1]
	v_pk_add_f32 v[88:89], v[82:83], v[84:85] op_sel_hi:[1,0] neg_lo:[0,1] neg_hi:[0,1]
	v_mov_b32_e32 v82, v83
	v_mov_b32_e32 v83, v81
	v_pk_mov_b32 v[84:85], v[70:71], v[84:85] op_sel:[1,0]
	v_mov_b32_e32 v88, v86
	v_pk_add_f32 v[82:83], v[82:83], v[84:85] neg_lo:[0,1] neg_hi:[0,1]
	v_mov_b32_e32 v87, v81
	v_pk_add_f32 v[70:71], v[78:79], v[82:83] neg_lo:[0,1] neg_hi:[0,1]
	s_nop 0
	v_pk_add_f32 v[78:79], v[88:89], v[70:71]
	s_nop 0
	v_pk_add_f32 v[82:83], v[78:79], v[78:79] op_sel:[0,1] op_sel_hi:[1,0]
	s_nop 0
	v_pk_add_f32 v[80:81], v[80:81], v[82:83] op_sel:[1,0] op_sel_hi:[0,1]
	v_mov_b32_e32 v79, v80
	v_pk_add_f32 v[84:85], v[78:79], v[86:87] neg_lo:[0,1] neg_hi:[0,1]
	v_mov_b32_e32 v71, v82
	v_sub_f32_e32 v78, v78, v84
	v_pk_add_f32 v[70:71], v[70:71], v[84:85] neg_lo:[0,1] neg_hi:[0,1]
	v_sub_f32_e32 v78, v86, v78
	v_add_f32_e32 v70, v70, v78
	v_add_f32_e32 v70, v70, v71
	;; [unrolled: 1-line block ×3, first 2 shown]
	v_sub_f32_e32 v78, v71, v80
	v_sub_f32_e32 v70, v70, v78
	v_mul_f32_e32 v78, v91, v71
	v_fma_f32 v71, v91, v71, -v78
	v_fmac_f32_e32 v71, v91, v70
	v_add_f32_e32 v70, v78, v71
	v_cmp_class_f32_e64 s[0:1], v78, s22
	v_sub_f32_e32 v79, v70, v78
	v_sub_f32_e32 v71, v71, v79
	v_cndmask_b32_e64 v70, v70, v78, s[0:1]
	v_cmp_eq_f32_e64 s[0:1], s20, v70
	s_nop 1
	v_cndmask_b32_e64 v78, 0, v66, s[0:1]
	v_sub_f32_e32 v79, v70, v78
	v_mul_f32_e32 v80, 0x3fb8aa3b, v79
	v_fma_f32 v81, v79, s21, -v80
	v_rndne_f32_e32 v82, v80
	v_fmac_f32_e32 v81, 0x32a5705f, v79
	v_sub_f32_e32 v80, v80, v82
	v_add_f32_e32 v80, v80, v81
	v_exp_f32_e32 v80, v80
	v_cvt_i32_f32_e32 v81, v82
	v_cmp_neq_f32_e64 s[0:1], |v70|, s24
	s_nop 1
	v_cndmask_b32_e64 v70, 0, v71, s[0:1]
	v_ldexp_f32 v71, v80, v81
	v_cmp_ngt_f32_e64 s[0:1], s23, v79
	v_add_f32_e32 v70, v78, v70
	s_nop 0
	v_cndmask_b32_e64 v71, 0, v71, s[0:1]
	v_cmp_nlt_f32_e64 s[0:1], s20, v79
	s_nop 1
	v_cndmask_b32_e64 v71, v67, v71, s[0:1]
	v_fma_f32 v70, v71, v70, v71
	v_cmp_class_f32_e64 s[0:1], v71, s22
	s_nop 1
	v_cndmask_b32_e64 v70, v70, v71, s[0:1]
	v_trunc_f32_e32 v71, v91
	v_cmp_eq_f32_e64 s[0:1], v71, v91
	v_mul_f32_e32 v71, 0.5, v91
	v_trunc_f32_e32 v78, v71
	v_cmp_neq_f32_e64 s[2:3], v78, v71
	s_and_b64 s[2:3], s[0:1], s[2:3]
	s_nop 0
	v_cndmask_b32_e64 v71, 1.0, v64, s[2:3]
	v_bfi_b32 v70, s25, v70, v71
	v_cndmask_b32_e64 v71, v76, v70, s[0:1]
	v_cmp_gt_f32_e64 s[0:1], 0, v64
	v_cndmask_b32_e64 v78, 0, v64, s[2:3]
	s_nop 0
	v_cndmask_b32_e64 v70, v70, v71, s[0:1]
	v_cmp_eq_f32_e64 s[0:1], 0, v64
	s_nop 1
	v_cndmask_b32_e64 v71, v67, 0, s[0:1]
	v_bfi_b32 v71, s25, v71, v78
	s_or_b64 s[0:1], s[0:1], s[4:5]
	v_cndmask_b32_e64 v70, v70, v71, s[0:1]
	v_fma_f32 v70, v70, s38, 1.0
	v_cmp_o_f32_e64 s[0:1], v64, v64
	s_add_u32 s12, s12, 1
	s_addc_u32 s13, s13, 0
	v_cndmask_b32_e64 v64, v76, v70, s[0:1]
	s_cmp_lg_u32 s12, 30
	v_fmac_f32_e32 v63, v90, v64
	s_cbranch_scc0 .LBB1_11
.LBB1_7:                                ; =>This Inner Loop Header: Depth=1
	s_waitcnt vmcnt(4)
	s_set_gpr_idx_on s12, gpr_idx(SRC0)
	v_mov_b32_e32 v64, v0
	s_set_gpr_idx_off
	v_add_f32_e32 v64, -1.0, v64
	v_fma_f32 v64, v64, s16, 1.0
	v_mul_f32_e32 v70, 0x40490e56, v64
	v_and_b32_e32 v71, 0x7fffffff, v70
	v_cmp_nlt_f32_e64 s[0:1], |v70|, s26
                                        ; implicit-def: $vgpr64
                                        ; implicit-def: $vgpr78
	s_and_saveexec_b64 s[2:3], s[0:1]
	s_xor_b64 s[14:15], exec, s[2:3]
	s_cbranch_execz .LBB1_9
; %bb.8:                                ;   in Loop: Header=BB1_7 Depth=1
	v_lshrrev_b32_e32 v64, 23, v71
	v_add_u32_e32 v64, 0xffffff88, v64
	v_cmp_lt_u32_e64 s[0:1], 63, v64
	s_nop 1
	v_cndmask_b32_e64 v78, 0, v68, s[0:1]
	v_add_u32_e32 v64, v78, v64
	v_cmp_lt_u32_e64 s[2:3], 31, v64
	s_nop 1
	v_cndmask_b32_e64 v78, 0, v69, s[2:3]
	;; [unrolled: 4-line block ×3, first 2 shown]
	v_add_u32_e32 v92, v78, v64
	v_and_b32_e32 v64, 0x7fffff, v71
	v_or_b32_e32 v90, 0x800000, v64
	v_mad_u64_u32 v[78:79], s[6:7], v90, s27, 0
	v_mov_b32_e32 v64, v79
	v_mad_u64_u32 v[80:81], s[6:7], v90, s28, v[64:65]
	v_mov_b32_e32 v64, v81
	;; [unrolled: 2-line block ×6, first 2 shown]
	v_mad_u64_u32 v[90:91], s[6:7], v90, s34, v[64:65]
	v_cndmask_b32_e64 v79, v88, v84, s[0:1]
	v_cndmask_b32_e64 v64, v90, v86, s[0:1]
	;; [unrolled: 1-line block ×10, first 2 shown]
	v_sub_u32_e32 v85, 32, v92
	v_cndmask_b32_e64 v83, v83, v80, s[2:3]
	v_alignbit_b32 v86, v64, v81, v85
	v_cmp_eq_u32_e64 s[6:7], 0, v92
	v_cndmask_b32_e64 v79, v79, v83, s[4:5]
	v_cndmask_b32_e64 v78, v82, v78, s[0:1]
	;; [unrolled: 1-line block ×3, first 2 shown]
	v_alignbit_b32 v84, v81, v79, v85
	v_cndmask_b32_e64 v78, v80, v78, s[2:3]
	v_cndmask_b32_e64 v81, v84, v81, s[6:7]
	v_bfe_u32 v87, v64, 29, 1
	v_cndmask_b32_e64 v78, v83, v78, s[4:5]
	v_alignbit_b32 v84, v64, v81, 30
	v_sub_u32_e32 v88, 0, v87
	v_alignbit_b32 v80, v79, v78, v85
	v_xor_b32_e32 v84, v84, v88
	v_cndmask_b32_e64 v79, v80, v79, s[6:7]
	v_alignbit_b32 v80, v81, v79, 30
	v_ffbh_u32_e32 v81, v84
	v_min_u32_e32 v81, 32, v81
	v_alignbit_b32 v78, v79, v78, 30
	v_xor_b32_e32 v80, v80, v88
	v_sub_u32_e32 v82, 31, v81
	v_xor_b32_e32 v78, v78, v88
	v_alignbit_b32 v83, v84, v80, v82
	v_alignbit_b32 v78, v80, v78, v82
	;; [unrolled: 1-line block ×3, first 2 shown]
	v_ffbh_u32_e32 v80, v79
	v_min_u32_e32 v80, 32, v80
	v_lshrrev_b32_e32 v86, 29, v64
	v_not_b32_e32 v82, v80
	v_alignbit_b32 v78, v79, v78, v82
	v_lshlrev_b32_e32 v79, 31, v86
	v_or_b32_e32 v82, 0x33000000, v79
	v_add_lshl_u32 v80, v80, v81, 23
	v_lshrrev_b32_e32 v78, 9, v78
	v_sub_u32_e32 v80, v82, v80
	v_or_b32_e32 v79, 0.5, v79
	v_lshlrev_b32_e32 v81, 23, v81
	v_or_b32_e32 v78, v80, v78
	v_lshrrev_b32_e32 v80, 9, v83
	v_sub_u32_e32 v79, v79, v81
	v_or_b32_e32 v79, v80, v79
	v_mul_f32_e32 v80, 0x3fc90fda, v79
	v_fma_f32 v81, v79, s35, -v80
	v_fmac_f32_e32 v81, 0x33a22168, v79
	v_fmac_f32_e32 v81, 0x3fc90fda, v78
	v_lshrrev_b32_e32 v64, 30, v64
	v_add_f32_e32 v78, v80, v81
	v_add_u32_e32 v64, v87, v64
.LBB1_9:                                ;   in Loop: Header=BB1_7 Depth=1
	s_andn2_saveexec_b64 s[0:1], s[14:15]
	s_cbranch_execz .LBB1_6
; %bb.10:                               ;   in Loop: Header=BB1_7 Depth=1
	v_mul_f32_e64 v64, |v70|, s36
	v_rndne_f32_e32 v79, v64
	v_cvt_i32_f32_e32 v64, v79
	v_fma_f32 v78, v79, s37, |v70|
	v_fmac_f32_e32 v78, 0xb3a22168, v79
	v_fmac_f32_e32 v78, 0xa7c234c4, v79
	s_branch .LBB1_6
.LBB1_11:
	v_add_f32_e32 v64, -1.0, v30
	v_mov_b32_e32 v65, 1.0
	v_fmamk_f32 v64, v64, 0x3e800000, v65
	v_mul_f32_e32 v64, 0x40490e56, v64
	s_brev_b32 s0, 18
	v_and_b32_e32 v65, 0x7fffffff, v64
	v_cmp_nlt_f32_e64 s[0:1], |v64|, s0
                                        ; implicit-def: $vgpr66
                                        ; implicit-def: $vgpr67
	s_and_saveexec_b64 s[2:3], s[0:1]
	s_xor_b64 s[12:13], exec, s[2:3]
	s_cbranch_execz .LBB1_13
; %bb.12:
	v_lshrrev_b32_e32 v66, 23, v65
	v_add_u32_e32 v66, 0xffffff88, v66
	v_not_b32_e32 v67, 63
	v_cmp_lt_u32_e64 s[0:1], 63, v66
	s_mov_b32 s6, 0xfe5163ab
	v_mov_b32_e32 v69, 0
	v_cndmask_b32_e64 v67, 0, v67, s[0:1]
	v_add_u32_e32 v66, v67, v66
	v_not_b32_e32 v67, 31
	v_cmp_lt_u32_e64 s[2:3], 31, v66
	s_nop 1
	v_cndmask_b32_e64 v68, 0, v67, s[2:3]
	v_add_u32_e32 v66, v68, v66
	v_cmp_lt_u32_e64 s[4:5], 31, v66
	s_nop 1
	v_cndmask_b32_e64 v67, 0, v67, s[4:5]
	v_add_u32_e32 v82, v67, v66
	v_and_b32_e32 v66, 0x7fffff, v65
	v_or_b32_e32 v83, 0x800000, v66
	v_mad_u64_u32 v[66:67], s[6:7], v83, s6, 0
	v_mov_b32_e32 v68, v67
	s_mov_b32 s6, 0x3c439041
	v_mad_u64_u32 v[70:71], s[6:7], v83, s6, v[68:69]
	v_mov_b32_e32 v68, v71
	s_mov_b32 s6, 0xdb629599
	;; [unrolled: 3-line block ×6, first 2 shown]
	v_mad_u64_u32 v[68:69], s[6:7], v83, s6, v[68:69]
	v_cndmask_b32_e64 v67, v80, v76, s[0:1]
	v_cndmask_b32_e64 v68, v68, v78, s[0:1]
	;; [unrolled: 1-line block ×10, first 2 shown]
	v_sub_u32_e32 v73, 32, v82
	v_cndmask_b32_e64 v69, v69, v70, s[2:3]
	v_alignbit_b32 v77, v68, v71, v73
	v_cmp_eq_u32_e64 s[6:7], 0, v82
	v_cndmask_b32_e64 v67, v67, v69, s[4:5]
	v_alignbit_b32 v76, v71, v67, v73
	v_cndmask_b32_e64 v68, v77, v68, s[6:7]
	v_cndmask_b32_e64 v66, v72, v66, s[0:1]
	;; [unrolled: 1-line block ×3, first 2 shown]
	v_bfe_u32 v78, v68, 29, 1
	v_cndmask_b32_e64 v66, v70, v66, s[2:3]
	v_alignbit_b32 v76, v68, v71, 30
	v_sub_u32_e32 v79, 0, v78
	v_cndmask_b32_e64 v66, v69, v66, s[4:5]
	v_xor_b32_e32 v76, v76, v79
	v_alignbit_b32 v69, v67, v66, v73
	v_cndmask_b32_e64 v67, v69, v67, s[6:7]
	v_ffbh_u32_e32 v70, v76
	v_alignbit_b32 v69, v71, v67, 30
	v_min_u32_e32 v70, 32, v70
	v_alignbit_b32 v66, v67, v66, 30
	v_xor_b32_e32 v69, v69, v79
	v_sub_u32_e32 v71, 31, v70
	v_xor_b32_e32 v66, v66, v79
	v_alignbit_b32 v72, v76, v69, v71
	v_alignbit_b32 v66, v69, v66, v71
	;; [unrolled: 1-line block ×3, first 2 shown]
	v_ffbh_u32_e32 v69, v67
	v_min_u32_e32 v69, 32, v69
	v_lshrrev_b32_e32 v77, 29, v68
	v_not_b32_e32 v71, v69
	v_alignbit_b32 v66, v67, v66, v71
	v_lshlrev_b32_e32 v67, 31, v77
	v_or_b32_e32 v71, 0x33000000, v67
	v_add_lshl_u32 v69, v69, v70, 23
	v_lshrrev_b32_e32 v66, 9, v66
	v_sub_u32_e32 v69, v71, v69
	v_or_b32_e32 v67, 0.5, v67
	v_lshlrev_b32_e32 v70, 23, v70
	v_or_b32_e32 v66, v69, v66
	v_lshrrev_b32_e32 v69, 9, v72
	v_sub_u32_e32 v67, v67, v70
	v_or_b32_e32 v67, v69, v67
	s_mov_b32 s0, 0x3fc90fda
	v_mul_f32_e32 v69, 0x3fc90fda, v67
	v_fma_f32 v70, v67, s0, -v69
	v_fmamk_f32 v67, v67, 0x33a22168, v70
	v_fmac_f32_e32 v67, 0x3fc90fda, v66
	v_lshrrev_b32_e32 v66, 30, v68
	v_add_f32_e32 v67, v69, v67
	v_add_u32_e32 v66, v78, v66
.LBB1_13:
	s_andn2_saveexec_b64 s[0:1], s[12:13]
	s_cbranch_execz .LBB1_15
; %bb.14:
	s_mov_b32 s2, 0x3f22f983
	v_mul_f32_e64 v66, |v64|, s2
	v_rndne_f32_e32 v67, v66
	s_mov_b32 s2, 0xbfc90fda
	v_cvt_i32_f32_e32 v66, v67
	v_fma_f32 v68, v67, s2, |v64|
	v_fmamk_f32 v68, v67, 0xb3a22168, v68
	v_fmamk_f32 v67, v67, 0xa7c234c4, v68
.LBB1_15:
	s_or_b64 exec, exec, s[0:1]
	s_waitcnt vmcnt(3)
	v_add_f32_e32 v68, -1.0, v59
	s_mov_b32 s14, 0x3e800000
	v_fma_f32 v81, v68, s14, 1.0
	v_mul_f32_e32 v68, v67, v67
	v_mov_b32_e32 v76, 0x3c0881c4
	v_fmamk_f32 v69, v68, 0xb94c1982, v76
	v_fmaak_f32 v69, v68, v69, 0xbe2aaa9d
	v_mul_f32_e32 v69, v68, v69
	v_mov_b32_e32 v77, 0xbab64f3b
	v_fmac_f32_e32 v67, v67, v69
	v_fmamk_f32 v69, v68, 0x37d75334, v77
	v_fmaak_f32 v69, v68, v69, 0x3d2aabf7
	v_fmaak_f32 v69, v68, v69, 0xbf000004
	v_fma_f32 v68, v68, v69, 1.0
	v_and_b32_e32 v69, 1, v66
	v_lshlrev_b32_e32 v66, 30, v66
	v_cmp_eq_u32_e64 s[0:1], 0, v69
	v_and_b32_e32 v66, 0x80000000, v66
	v_xor_b32_e32 v65, v65, v64
	v_cndmask_b32_e64 v67, v68, v67, s[0:1]
	v_xor_b32_e32 v65, v65, v66
	s_movk_i32 s15, 0x1f8
	v_xor_b32_e32 v65, v65, v67
	v_mov_b32_e32 v78, 0x7fc00000
	v_cmp_class_f32_e64 s[0:1], v64, s15
	s_mov_b32 s16, 0x3f2aaaab
                                        ; implicit-def: $vgpr70
                                        ; implicit-def: $vgpr70
                                        ; implicit-def: $vgpr70
	v_mov_b32_e32 v79, 0x3e91f4c4
	v_cndmask_b32_e64 v80, v78, v65, s[0:1]
	v_frexp_mant_f32_e64 v64, |v80|
	v_cmp_gt_f32_e64 s[0:1], s16, v64
	s_mov_b32 s17, 0x3f317218
	v_add_f32_e32 v81, -1.0, v81
	v_cndmask_b32_e64 v65, 1.0, 2.0, s[0:1]
	v_mul_f32_e32 v64, v64, v65
	v_add_f32_e32 v67, 1.0, v64
	v_rcp_f32_e32 v72, v67
	v_add_f32_e32 v65, -1.0, v67
	v_sub_f32_e32 v69, v64, v65
	v_add_f32_e32 v65, -1.0, v64
	v_mul_f32_e32 v73, v65, v72
	v_mul_f32_e32 v66, v67, v73
	v_fma_f32 v68, v73, v67, -v66
	v_fmac_f32_e32 v68, v73, v69
	v_add_f32_e32 v64, v66, v68
	v_sub_f32_e32 v67, v65, v64
	v_pk_add_f32 v[70:71], v[64:65], v[66:67] neg_lo:[0,1] neg_hi:[0,1]
	v_mov_b32_e32 v69, v64
	v_pk_add_f32 v[64:65], v[70:71], v[68:69] neg_lo:[0,1] neg_hi:[0,1]
                                        ; implicit-def: $vgpr69
	s_mov_b32 s18, 0x42b17218
	v_add_f32_e32 v64, v64, v65
	v_add_f32_e32 v64, v67, v64
	v_mul_f32_e32 v65, v72, v64
	v_add_f32_e32 v64, v73, v65
	v_sub_f32_e32 v66, v64, v73
	v_sub_f32_e32 v82, v65, v66
	v_mul_f32_e32 v65, v64, v64
	v_fma_f32 v67, v64, v64, -v65
	v_add_f32_e32 v66, v82, v82
	v_fmac_f32_e32 v67, v64, v66
	v_add_f32_e32 v66, v65, v67
	v_fmamk_f32 v68, v66, 0x3e76c4e1, v79
	v_fmaak_f32 v68, v66, v68, 0x3ecccdef
	v_sub_f32_e32 v65, v66, v65
	v_sub_f32_e32 v83, v67, v65
	v_mul_f32_e32 v65, v66, v68
	v_fma_f32 v67, v66, v68, -v65
	v_fmac_f32_e32 v67, v83, v68
	v_add_f32_e32 v68, v65, v67
	v_add_f32_e32 v69, 0x3f2aaaaa, v68
	v_sub_f32_e32 v65, v68, v65
	v_sub_f32_e32 v65, v67, v65
	v_add_f32_e32 v67, 0xbf2aaaaa, v69
	v_add_f32_e32 v65, 0x31739010, v65
	v_sub_f32_e32 v67, v68, v67
	v_pk_mul_f32 v[70:71], v[64:65], v[66:67]
	v_pk_add_f32 v[72:73], v[64:65], v[66:67]
	v_fma_f32 v68, v66, v64, -v70
	v_fmac_f32_e32 v68, v66, v82
	v_mov_b32_e32 v71, v73
	v_fmac_f32_e32 v68, v83, v64
	v_pk_add_f32 v[66:67], v[70:71], v[68:69]
	v_ldexp_f32 v84, v82, 1
	v_sub_f32_e32 v65, v66, v70
	v_sub_f32_e32 v65, v68, v65
	v_sub_f32_e32 v68, v69, v67
	v_add_f32_e32 v71, v73, v68
	v_pk_mul_f32 v[68:69], v[66:67], v[66:67] op_sel:[0,1] op_sel_hi:[1,0]
	v_cvt_f64_f32_e64 v[72:73], |v80|
	v_frexp_exp_i32_f64_e32 v69, v[72:73]
	v_subbrev_co_u32_e64 v69, s[0:1], 0, v69, s[0:1]
	v_cvt_f32_i32_e32 v69, v69
	v_fma_f32 v70, v66, v67, -v68
	v_fmac_f32_e32 v70, v66, v71
	v_fmac_f32_e32 v70, v65, v67
	v_mul_f32_e32 v72, 0x3f317218, v69
	v_fma_f32 v66, v69, s17, -v72
	v_fmac_f32_e32 v66, 0xb102e308, v69
	v_ldexp_f32 v67, v64, 1
	v_add_f32_e32 v73, v68, v70
	v_pk_add_f32 v[82:83], v[72:73], v[66:67]
	v_mov_b32_e32 v64, v73
	v_mov_b32_e32 v65, v83
	;; [unrolled: 1-line block ×3, first 2 shown]
	v_pk_add_f32 v[64:65], v[64:65], v[68:69] neg_lo:[0,1] neg_hi:[0,1]
	v_mov_b32_e32 v71, v73
	v_pk_add_f32 v[64:65], v[70:71], v[64:65] neg_lo:[0,1] neg_hi:[0,1]
	v_mov_b32_e32 v67, v82
	v_add_f32_e32 v64, v84, v64
	v_add_f32_e32 v73, v64, v65
	v_pk_add_f32 v[68:69], v[82:83], v[72:73] neg_lo:[0,1] neg_hi:[0,1]
	v_pk_add_f32 v[70:71], v[82:83], v[72:73]
	s_mov_b32 s19, 0x3fb8aa3b
	v_mov_b32_e32 v69, v71
	v_pk_add_f32 v[64:65], v[66:67], v[68:69] neg_lo:[0,1] neg_hi:[0,1]
	v_pk_add_f32 v[66:67], v[66:67], v[68:69]
	s_movk_i32 s20, 0x204
	v_pk_add_f32 v[68:69], v[66:67], v[82:83] op_sel:[1,0] op_sel_hi:[0,1] neg_lo:[0,1] neg_hi:[0,1]
	v_pk_add_f32 v[84:85], v[70:71], v[68:69] op_sel_hi:[1,0] neg_lo:[0,1] neg_hi:[0,1]
	v_mov_b32_e32 v66, v71
	v_pk_mov_b32 v[68:69], v[82:83], v[68:69] op_sel:[1,0]
	v_mov_b32_e32 v70, v73
	v_pk_add_f32 v[68:69], v[66:67], v[68:69] neg_lo:[0,1] neg_hi:[0,1]
	v_mov_b32_e32 v71, v82
	v_frexp_mant_f32_e64 v66, |v81|
	v_pk_add_f32 v[68:69], v[70:71], v[68:69] neg_lo:[0,1] neg_hi:[0,1]
	v_mov_b32_e32 v84, v64
	v_cmp_gt_f32_e64 s[0:1], s16, v66
	v_pk_add_f32 v[70:71], v[84:85], v[68:69]
	v_mov_b32_e32 v65, v67
	v_cndmask_b32_e64 v69, 1.0, 2.0, s[0:1]
	v_mul_f32_e32 v66, v66, v69
	v_add_f32_e32 v69, 1.0, v66
	v_rcp_f32_e32 v88, v69
	v_add_f32_e32 v72, -1.0, v69
	v_add_f32_e32 v73, -1.0, v66
	v_sub_f32_e32 v72, v66, v72
	v_mul_f32_e32 v66, v73, v88
	v_mul_f32_e32 v82, v69, v66
	v_fma_f32 v84, v66, v69, -v82
	v_fmac_f32_e32 v84, v66, v72
	v_add_f32_e32 v72, v82, v84
	v_sub_f32_e32 v83, v73, v72
	v_pk_add_f32 v[86:87], v[72:73], v[82:83] neg_lo:[0,1] neg_hi:[0,1]
	v_mov_b32_e32 v85, v72
	v_pk_add_f32 v[72:73], v[86:87], v[84:85] neg_lo:[0,1] neg_hi:[0,1]
	s_mov_b32 s21, 0xc2ce8ed0
	v_add_f32_e32 v69, v72, v73
	v_add_f32_e32 v69, v83, v69
	v_mul_f32_e32 v69, v88, v69
	v_add_f32_e32 v72, v66, v69
	v_sub_f32_e32 v66, v72, v66
	v_sub_f32_e32 v66, v69, v66
	v_mul_f32_e32 v69, v72, v72
	v_fma_f32 v73, v72, v72, -v69
	v_add_f32_e32 v82, v66, v66
	v_fmac_f32_e32 v73, v72, v82
	v_add_f32_e32 v82, v69, v73
	v_fmamk_f32 v83, v82, 0x3e76c4e1, v79
	v_fmaak_f32 v83, v82, v83, 0x3ecccdef
	v_sub_f32_e32 v69, v82, v69
	v_sub_f32_e32 v69, v73, v69
	v_mul_f32_e32 v73, v82, v83
	v_fma_f32 v84, v82, v83, -v73
	v_fmac_f32_e32 v84, v69, v83
	v_add_f32_e32 v83, v73, v84
	v_add_f32_e32 v85, 0x3f2aaaaa, v83
	v_sub_f32_e32 v73, v83, v73
	v_sub_f32_e32 v73, v84, v73
	v_add_f32_e32 v84, 0xbf2aaaaa, v85
	v_add_f32_e32 v73, 0x31739010, v73
	v_sub_f32_e32 v83, v83, v84
	v_pk_mul_f32 v[86:87], v[72:73], v[82:83]
	v_pk_add_f32 v[88:89], v[72:73], v[82:83]
	v_fma_f32 v84, v82, v72, -v86
	v_fmac_f32_e32 v84, v82, v66
	v_mov_b32_e32 v87, v89
	v_fmac_f32_e32 v84, v69, v72
	v_pk_add_f32 v[82:83], v[86:87], v[84:85]
	v_ldexp_f32 v66, v66, 1
	v_sub_f32_e32 v69, v82, v86
	v_sub_f32_e32 v69, v84, v69
	;; [unrolled: 1-line block ×3, first 2 shown]
	v_pk_mul_f32 v[84:85], v[82:83], v[82:83] op_sel:[0,1] op_sel_hi:[1,0]
	v_cvt_f64_f32_e64 v[86:87], |v81|
	v_frexp_exp_i32_f64_e32 v85, v[86:87]
	v_subbrev_co_u32_e64 v85, s[0:1], 0, v85, s[0:1]
	v_cvt_f32_i32_e32 v85, v85
	v_add_f32_e32 v73, v89, v73
	v_fma_f32 v86, v82, v83, -v84
	v_fmac_f32_e32 v86, v82, v73
	v_mul_f32_e32 v82, 0x3f317218, v85
	v_fmac_f32_e32 v86, v69, v83
	v_fma_f32 v88, v85, s17, -v82
	v_fmac_f32_e32 v88, 0xb102e308, v85
	v_ldexp_f32 v89, v72, 1
	v_add_f32_e32 v83, v84, v86
	v_pk_add_f32 v[72:73], v[82:83], v[88:89]
	v_mov_b32_e32 v90, v83
	v_mov_b32_e32 v91, v73
	;; [unrolled: 1-line block ×3, first 2 shown]
	v_pk_add_f32 v[84:85], v[90:91], v[84:85] neg_lo:[0,1] neg_hi:[0,1]
	v_mov_b32_e32 v87, v83
	v_pk_add_f32 v[84:85], v[86:87], v[84:85] neg_lo:[0,1] neg_hi:[0,1]
	v_mov_b32_e32 v89, v72
	v_add_f32_e32 v66, v66, v84
	v_add_f32_e32 v83, v66, v85
	v_pk_add_f32 v[84:85], v[72:73], v[82:83] neg_lo:[0,1] neg_hi:[0,1]
	v_pk_add_f32 v[86:87], v[72:73], v[82:83]
	v_mov_b32_e32 v82, v83
	v_mov_b32_e32 v85, v87
	v_pk_add_f32 v[90:91], v[88:89], v[84:85] neg_lo:[0,1] neg_hi:[0,1]
	v_pk_add_f32 v[84:85], v[88:89], v[84:85]
	v_mov_b32_e32 v83, v72
	v_pk_add_f32 v[88:89], v[84:85], v[72:73] op_sel:[1,0] op_sel_hi:[0,1] neg_lo:[0,1] neg_hi:[0,1]
	v_pk_add_f32 v[92:93], v[86:87], v[88:89] op_sel_hi:[1,0] neg_lo:[0,1] neg_hi:[0,1]
	v_mov_b32_e32 v84, v87
	v_pk_mov_b32 v[86:87], v[72:73], v[88:89] op_sel:[1,0]
	v_mov_b32_e32 v92, v90
	v_pk_add_f32 v[86:87], v[84:85], v[86:87] neg_lo:[0,1] neg_hi:[0,1]
	v_mov_b32_e32 v89, v70
	v_pk_add_f32 v[82:83], v[82:83], v[86:87] neg_lo:[0,1] neg_hi:[0,1]
	v_mov_b32_e32 v66, v85
	v_pk_add_f32 v[86:87], v[92:93], v[82:83]
	v_mov_b32_e32 v93, v71
	v_mov_b32_e32 v88, v86
	;; [unrolled: 1-line block ×3, first 2 shown]
	v_pk_add_f32 v[92:93], v[88:89], v[92:93]
	v_mov_b32_e32 v91, v85
	v_pk_add_f32 v[66:67], v[66:67], v[92:93]
	v_mov_b32_e32 v69, v93
	v_mov_b32_e32 v71, v67
	;; [unrolled: 1-line block ×3, first 2 shown]
	v_pk_add_f32 v[70:71], v[70:71], v[64:65] neg_lo:[0,1] neg_hi:[0,1]
	v_pk_add_f32 v[84:85], v[86:87], v[90:91] neg_lo:[0,1] neg_hi:[0,1]
	v_mov_b32_e32 v87, v70
	v_mov_b32_e32 v86, v84
	v_pk_add_f32 v[68:69], v[68:69], v[70:71] neg_lo:[0,1] neg_hi:[0,1]
	v_pk_add_f32 v[70:71], v[88:89], v[86:87] neg_lo:[0,1] neg_hi:[0,1]
	v_mov_b32_e32 v91, v64
	v_mov_b32_e32 v83, v92
	;; [unrolled: 4-line block ×3, first 2 shown]
	v_pk_add_f32 v[64:65], v[82:83], v[64:65]
	v_mov_b32_e32 v68, v71
	v_cmp_eq_f32_e64 s[0:1], 1.0, v80
	v_pk_add_f32 v[64:65], v[64:65], v[68:69]
	v_mov_b32_e32 v84, 0x204
	v_cndmask_b32_e64 v73, 2.0, 1.0, s[0:1]
	v_cmp_eq_f32_e64 s[0:1], 1.0, v81
	v_pk_add_f32 v[68:69], v[66:67], v[64:65]
	v_trunc_f32_e32 v86, v73
	v_cndmask_b32_e64 v72, 2.0, 1.0, s[0:1]
	v_pk_add_f32 v[66:67], v[68:69], v[66:67] neg_lo:[0,1] neg_hi:[0,1]
	s_brev_b32 s23, -2
	v_pk_add_f32 v[64:65], v[64:65], v[66:67] neg_lo:[0,1] neg_hi:[0,1]
	v_pk_mul_f32 v[66:67], v[72:73], v[68:69]
	v_cmp_class_f32_e64 s[26:27], v80, s20
	v_fma_f32 v69, v73, v69, -v67
	v_fmac_f32_e32 v69, v73, v65
	v_add_f32_e32 v65, v67, v69
	v_cmp_class_f32_e64 s[0:1], v67, v84
	v_sub_f32_e32 v70, v65, v67
	v_sub_f32_e32 v83, v69, v70
	v_cndmask_b32_e64 v85, v65, v67, s[0:1]
	v_fma_f32 v65, v72, v68, -v66
	v_fmac_f32_e32 v65, v72, v64
	v_add_f32_e32 v64, v66, v65
	v_cmp_class_f32_e64 s[0:1], v66, v84
	v_sub_f32_e32 v67, v64, v66
	v_sub_f32_e32 v67, v65, v67
	v_cndmask_b32_e64 v68, v64, v66, s[0:1]
	v_mov_b32_e32 v66, 0x37000000
	v_cmp_eq_f32_e64 s[0:1], s18, v85
	v_cmp_class_f32_e64 s[12:13], v81, s20
	s_mov_b32 s24, 0
	v_cndmask_b32_e64 v65, 0, v66, s[0:1]
	v_sub_f32_e32 v69, v85, v65
	v_mul_f32_e32 v64, 0x3fb8aa3b, v69
	v_fma_f32 v70, v69, s19, -v64
	v_rndne_f32_e32 v71, v64
	v_fmac_f32_e32 v70, 0x32a5705f, v69
	v_sub_f32_e32 v64, v64, v71
	v_add_f32_e32 v64, v64, v70
	v_exp_f32_e32 v70, v64
	v_cvt_i32_f32_e32 v71, v71
	v_cmp_class_f32_e64 s[0:1], v68, s20
	s_mov_b32 s22, 0x7f800000
	s_brev_b32 s25, 18
	v_cndmask_b32_e64 v64, v67, 0, s[0:1]
	v_ldexp_f32 v67, v70, v71
	v_cmp_ngt_f32_e64 s[0:1], s21, v69
	s_mov_b32 s28, 0xdb629599
	s_mov_b32 s29, 0xf534ddc0
	v_cndmask_b32_e64 v70, 0, v67, s[0:1]
	v_mov_b32_e32 v67, 0x7f800000
	v_cmp_nlt_f32_e64 s[0:1], s18, v69
	s_mov_b32 s30, 0xfc2757d1
	s_mov_b32 s31, 0x4e441529
	v_cndmask_b32_e64 v69, v67, v70, s[0:1]
	v_cmp_eq_f32_e64 s[0:1], s18, v68
	v_pk_mul_f32 v[70:71], v[72:73], 0.5 op_sel_hi:[1,0]
	s_mov_b32 s33, 0xa2f9836e
	v_cndmask_b32_e64 v82, 0, v66, s[0:1]
	v_sub_f32_e32 v68, v68, v82
	v_mul_f32_e32 v88, 0x3fb8aa3b, v68
	v_fma_f32 v89, v68, s19, -v88
	v_rndne_f32_e32 v90, v88
	v_fmac_f32_e32 v89, 0x32a5705f, v68
	v_sub_f32_e32 v88, v88, v90
	v_add_f32_e32 v88, v88, v89
	v_exp_f32_e32 v88, v88
	v_cvt_i32_f32_e32 v89, v90
	v_cmp_class_f32_e64 s[0:1], v85, s20
	v_trunc_f32_e32 v87, v71
	v_cmp_neq_f32_e64 s[6:7], v87, v71
	v_cndmask_b32_e64 v83, v83, 0, s[0:1]
	v_pk_add_f32 v[64:65], v[64:65], v[82:83]
	v_ldexp_f32 v82, v88, v89
	v_cmp_ngt_f32_e64 s[0:1], s21, v68
	s_mov_b32 s34, 0x3fc90fda
	s_mov_b32 s35, 0x3f22f983
	v_cndmask_b32_e64 v82, 0, v82, s[0:1]
	v_cmp_nlt_f32_e64 s[0:1], s18, v68
	s_mov_b32 s36, 0xbfc90fda
	s_mov_b32 s37, 0x41200000
	v_cndmask_b32_e64 v68, v67, v82, s[0:1]
	v_pk_fma_f32 v[64:65], v[68:69], v[64:65], v[68:69]
	v_cmp_class_f32_e64 s[0:1], v68, v84
	s_nop 1
	v_cndmask_b32_e64 v64, v64, v68, s[0:1]
	v_cmp_class_f32_e64 s[0:1], v69, v84
	v_trunc_f32_e32 v68, v72
	v_cmp_eq_f32_e64 s[2:3], v68, v72
	v_cndmask_b32_e64 v65, v65, v69, s[0:1]
	v_cmp_eq_f32_e64 s[0:1], v86, v73
	v_trunc_f32_e32 v68, v70
	v_cmp_neq_f32_e64 s[4:5], v68, v70
	s_and_b64 s[6:7], s[0:1], s[6:7]
	v_cndmask_b32_e64 v68, 1.0, v80, s[6:7]
	s_and_b64 s[4:5], s[2:3], s[4:5]
	v_cndmask_b32_e64 v69, 1.0, v81, s[4:5]
	v_bfi_b32 v65, s23, v65, v68
	v_bfi_b32 v64, s23, v64, v69
	v_cndmask_b32_e64 v69, v78, v65, s[0:1]
	v_cmp_gt_f32_e64 s[0:1], 0, v80
	v_cndmask_b32_e64 v68, v78, v64, s[2:3]
	v_cmp_eq_f32_e64 s[2:3], 0, v81
	v_cndmask_b32_e64 v65, v65, v69, s[0:1]
	v_cmp_gt_f32_e64 s[0:1], 0, v81
	v_cndmask_b32_e64 v70, 0, v80, s[6:7]
	v_cndmask_b32_e64 v69, v67, 0, s[2:3]
	v_cndmask_b32_e64 v64, v64, v68, s[0:1]
	v_cmp_eq_f32_e64 s[0:1], 0, v80
	v_cndmask_b32_e64 v71, 0, v81, s[4:5]
	v_bfi_b32 v69, s23, v69, v71
	v_cndmask_b32_e64 v68, v67, 0, s[0:1]
	v_bfi_b32 v68, s23, v68, v70
	s_or_b64 s[0:1], s[0:1], s[26:27]
	s_or_b64 s[2:3], s[12:13], s[2:3]
	v_cndmask_b32_e64 v65, v65, v68, s[0:1]
	v_cmp_o_f32_e64 s[0:1], v80, v80
	v_cndmask_b32_e64 v64, v64, v69, s[2:3]
	s_mov_b32 s26, 0xfe5163ab
	v_cndmask_b32_e64 v65, v78, v65, s[0:1]
	v_cmp_o_f32_e64 s[0:1], v81, v81
	s_mov_b32 s27, 0x3c439041
	v_not_b32_e32 v69, 63
	v_cndmask_b32_e64 v64, v78, v64, s[0:1]
	v_add_f32_e32 v68, v64, v65
	v_mov_b32_e32 v65, 0
	v_not_b32_e32 v70, 31
.LBB1_16:                               ; =>This Inner Loop Header: Depth=1
	s_add_i32 s38, s24, 1
	s_waitcnt vmcnt(0)
	s_set_gpr_idx_on s38, gpr_idx(SRC0)
	v_mov_b32_e32 v64, v30
	s_set_gpr_idx_off
	v_add_f32_e32 v64, -1.0, v64
	v_fma_f32 v64, v64, s14, 1.0
	v_mul_f32_e32 v71, 0x40490e56, v64
	v_and_b32_e32 v72, 0x7fffffff, v71
	v_cmp_nlt_f32_e64 s[0:1], |v71|, s25
                                        ; implicit-def: $vgpr64
                                        ; implicit-def: $vgpr73
	s_and_saveexec_b64 s[2:3], s[0:1]
	s_xor_b64 s[12:13], exec, s[2:3]
	s_cbranch_execz .LBB1_18
; %bb.17:                               ;   in Loop: Header=BB1_16 Depth=1
	v_lshrrev_b32_e32 v64, 23, v72
	v_add_u32_e32 v64, 0xffffff88, v64
	v_cmp_lt_u32_e64 s[0:1], 63, v64
	s_nop 1
	v_cndmask_b32_e64 v73, 0, v69, s[0:1]
	v_add_u32_e32 v64, v73, v64
	v_cmp_lt_u32_e64 s[2:3], 31, v64
	s_nop 1
	v_cndmask_b32_e64 v73, 0, v70, s[2:3]
	;; [unrolled: 4-line block ×3, first 2 shown]
	v_add_u32_e32 v73, v73, v64
	v_and_b32_e32 v64, 0x7fffff, v72
	v_or_b32_e32 v92, 0x800000, v64
	v_mad_u64_u32 v[80:81], s[6:7], v92, s26, 0
	v_mov_b32_e32 v64, v81
	v_mad_u64_u32 v[82:83], s[6:7], v92, s27, v[64:65]
	v_mov_b32_e32 v64, v83
	;; [unrolled: 2-line block ×6, first 2 shown]
	v_mad_u64_u32 v[92:93], s[6:7], v92, s33, v[64:65]
	v_cndmask_b32_e64 v81, v90, v86, s[0:1]
	v_cndmask_b32_e64 v64, v92, v88, s[0:1]
	v_cndmask_b32_e64 v85, v93, v90, s[0:1]
	v_cndmask_b32_e64 v83, v64, v81, s[2:3]
	v_cndmask_b32_e64 v64, v85, v64, s[2:3]
	v_cndmask_b32_e64 v85, v88, v84, s[0:1]
	v_cndmask_b32_e64 v81, v81, v85, s[2:3]
	v_sub_u32_e32 v87, 32, v73
	v_cmp_eq_u32_e64 s[6:7], 0, v73
	v_cndmask_b32_e64 v73, v86, v82, s[0:1]
	v_cndmask_b32_e64 v64, v64, v83, s[4:5]
	;; [unrolled: 1-line block ×4, first 2 shown]
	v_alignbit_b32 v88, v64, v83, v87
	v_cndmask_b32_e64 v81, v81, v82, s[4:5]
	v_cndmask_b32_e64 v64, v88, v64, s[6:7]
	v_alignbit_b32 v85, v83, v81, v87
	v_cndmask_b32_e64 v80, v84, v80, s[0:1]
	v_cndmask_b32_e64 v83, v85, v83, s[6:7]
	v_bfe_u32 v88, v64, 29, 1
	v_cndmask_b32_e64 v73, v73, v80, s[2:3]
	v_alignbit_b32 v85, v64, v83, 30
	v_sub_u32_e32 v89, 0, v88
	v_cndmask_b32_e64 v73, v82, v73, s[4:5]
	v_xor_b32_e32 v85, v85, v89
	v_alignbit_b32 v80, v81, v73, v87
	v_cndmask_b32_e64 v80, v80, v81, s[6:7]
	v_ffbh_u32_e32 v82, v85
	v_alignbit_b32 v81, v83, v80, 30
	v_min_u32_e32 v82, 32, v82
	v_alignbit_b32 v73, v80, v73, 30
	v_xor_b32_e32 v81, v81, v89
	v_sub_u32_e32 v83, 31, v82
	v_xor_b32_e32 v73, v73, v89
	v_alignbit_b32 v84, v85, v81, v83
	v_alignbit_b32 v73, v81, v73, v83
	;; [unrolled: 1-line block ×3, first 2 shown]
	v_ffbh_u32_e32 v81, v80
	v_min_u32_e32 v81, 32, v81
	v_lshrrev_b32_e32 v86, 29, v64
	v_not_b32_e32 v83, v81
	v_alignbit_b32 v73, v80, v73, v83
	v_lshlrev_b32_e32 v80, 31, v86
	v_or_b32_e32 v83, 0x33000000, v80
	v_add_lshl_u32 v81, v81, v82, 23
	v_lshrrev_b32_e32 v73, 9, v73
	v_sub_u32_e32 v81, v83, v81
	v_or_b32_e32 v80, 0.5, v80
	v_lshlrev_b32_e32 v82, 23, v82
	v_or_b32_e32 v73, v81, v73
	v_lshrrev_b32_e32 v81, 9, v84
	v_sub_u32_e32 v80, v80, v82
	v_or_b32_e32 v80, v81, v80
	v_mul_f32_e32 v81, 0x3fc90fda, v80
	v_fma_f32 v82, v80, s34, -v81
	v_fmac_f32_e32 v82, 0x33a22168, v80
	v_fmac_f32_e32 v82, 0x3fc90fda, v73
	v_lshrrev_b32_e32 v64, 30, v64
	v_add_f32_e32 v73, v81, v82
	v_add_u32_e32 v64, v88, v64
.LBB1_18:                               ;   in Loop: Header=BB1_16 Depth=1
	s_andn2_saveexec_b64 s[0:1], s[12:13]
; %bb.19:                               ;   in Loop: Header=BB1_16 Depth=1
	v_mul_f32_e64 v64, |v71|, s35
	v_rndne_f32_e32 v80, v64
	v_cvt_i32_f32_e32 v64, v80
	v_fma_f32 v73, v80, s36, |v71|
	v_fmac_f32_e32 v73, 0xb3a22168, v80
	v_fmac_f32_e32 v73, 0xa7c234c4, v80
; %bb.20:                               ;   in Loop: Header=BB1_16 Depth=1
	s_or_b64 exec, exec, s[0:1]
	s_set_gpr_idx_on s24, gpr_idx(SRC0)
	v_mov_b32_e32 v80, v30
	s_set_gpr_idx_off
	v_add_f32_e32 v80, -1.0, v80
	v_fma_f32 v80, v80, s14, 1.0
	v_add_f32_e32 v94, -1.0, v80
	v_cmp_eq_f32_e64 s[0:1], 1.0, v94
	v_frexp_mant_f32_e64 v80, |v94|
	v_cmp_class_f32_e64 s[4:5], v94, s20
	v_cndmask_b32_e64 v95, 2.0, 1.0, s[0:1]
	v_cmp_gt_f32_e64 s[0:1], s16, v80
	v_xor_b32_e32 v72, v72, v71
	s_nop 0
	v_cndmask_b32_e64 v81, 1.0, 2.0, s[0:1]
	v_mul_f32_e32 v80, v80, v81
	v_add_f32_e32 v83, 1.0, v80
	v_rcp_f32_e32 v88, v83
	v_add_f32_e32 v81, -1.0, v83
	v_sub_f32_e32 v85, v80, v81
	v_add_f32_e32 v81, -1.0, v80
	v_mul_f32_e32 v89, v81, v88
	v_mul_f32_e32 v82, v83, v89
	v_fma_f32 v84, v89, v83, -v82
	v_fmac_f32_e32 v84, v89, v85
	v_add_f32_e32 v80, v82, v84
	v_sub_f32_e32 v83, v81, v80
	v_pk_add_f32 v[86:87], v[80:81], v[82:83] neg_lo:[0,1] neg_hi:[0,1]
	v_mov_b32_e32 v85, v80
	v_pk_add_f32 v[80:81], v[86:87], v[84:85] neg_lo:[0,1] neg_hi:[0,1]
	s_nop 0
	v_add_f32_e32 v80, v80, v81
	v_add_f32_e32 v80, v83, v80
	v_mul_f32_e32 v81, v88, v80
	v_add_f32_e32 v80, v89, v81
	v_sub_f32_e32 v82, v80, v89
	v_sub_f32_e32 v90, v81, v82
	v_mul_f32_e32 v81, v80, v80
	v_fma_f32 v83, v80, v80, -v81
	v_add_f32_e32 v82, v90, v90
	v_fmac_f32_e32 v83, v80, v82
	v_add_f32_e32 v82, v81, v83
	v_fmamk_f32 v84, v82, 0x3e76c4e1, v79
	v_fmaak_f32 v84, v82, v84, 0x3ecccdef
	v_sub_f32_e32 v81, v82, v81
	v_sub_f32_e32 v91, v83, v81
	v_mul_f32_e32 v81, v82, v84
	v_fma_f32 v83, v82, v84, -v81
	v_fmac_f32_e32 v83, v91, v84
	v_add_f32_e32 v84, v81, v83
	v_add_f32_e32 v85, 0x3f2aaaaa, v84
	v_sub_f32_e32 v81, v84, v81
	v_sub_f32_e32 v81, v83, v81
	v_add_f32_e32 v83, 0xbf2aaaaa, v85
	v_add_f32_e32 v81, 0x31739010, v81
	v_sub_f32_e32 v83, v84, v83
	v_pk_mul_f32 v[86:87], v[80:81], v[82:83]
	v_pk_add_f32 v[88:89], v[80:81], v[82:83]
	v_fma_f32 v84, v82, v80, -v86
	v_fmac_f32_e32 v84, v82, v90
	v_mov_b32_e32 v87, v89
	v_fmac_f32_e32 v84, v91, v80
	v_pk_add_f32 v[82:83], v[86:87], v[84:85]
	v_ldexp_f32 v92, v90, 1
	v_sub_f32_e32 v81, v82, v86
	v_sub_f32_e32 v81, v84, v81
	v_sub_f32_e32 v84, v85, v83
	v_add_f32_e32 v88, v89, v84
	v_pk_mul_f32 v[84:85], v[82:83], v[82:83] op_sel:[0,1] op_sel_hi:[1,0]
	v_cvt_f64_f32_e64 v[86:87], |v94|
	v_frexp_exp_i32_f64_e32 v85, v[86:87]
	v_subbrev_co_u32_e64 v85, s[0:1], 0, v85, s[0:1]
	v_cvt_f32_i32_e32 v85, v85
	v_fma_f32 v86, v82, v83, -v84
	v_fmac_f32_e32 v86, v82, v88
	v_fmac_f32_e32 v86, v81, v83
	v_mul_f32_e32 v82, 0x3f317218, v85
	v_fma_f32 v88, v85, s17, -v82
	v_fmac_f32_e32 v88, 0xb102e308, v85
	v_ldexp_f32 v89, v80, 1
	v_add_f32_e32 v83, v84, v86
	v_pk_add_f32 v[80:81], v[82:83], v[88:89]
	v_mov_b32_e32 v90, v83
	v_mov_b32_e32 v91, v81
	v_mov_b32_e32 v85, v89
	v_pk_add_f32 v[84:85], v[90:91], v[84:85] neg_lo:[0,1] neg_hi:[0,1]
	v_mov_b32_e32 v87, v83
	v_pk_add_f32 v[84:85], v[86:87], v[84:85] neg_lo:[0,1] neg_hi:[0,1]
	v_mov_b32_e32 v89, v80
	v_add_f32_e32 v83, v92, v84
	v_add_f32_e32 v83, v83, v85
	v_pk_add_f32 v[84:85], v[80:81], v[82:83] neg_lo:[0,1] neg_hi:[0,1]
	v_pk_add_f32 v[86:87], v[80:81], v[82:83]
	v_mov_b32_e32 v82, v83
	v_mov_b32_e32 v85, v87
	v_pk_add_f32 v[90:91], v[88:89], v[84:85] neg_lo:[0,1] neg_hi:[0,1]
	v_pk_add_f32 v[84:85], v[88:89], v[84:85]
	v_mov_b32_e32 v83, v80
	v_pk_add_f32 v[88:89], v[84:85], v[80:81] op_sel:[1,0] op_sel_hi:[0,1] neg_lo:[0,1] neg_hi:[0,1]
	v_pk_add_f32 v[92:93], v[86:87], v[88:89] op_sel_hi:[1,0] neg_lo:[0,1] neg_hi:[0,1]
	v_mov_b32_e32 v86, v87
	v_mov_b32_e32 v87, v85
	v_pk_mov_b32 v[88:89], v[80:81], v[88:89] op_sel:[1,0]
	v_mov_b32_e32 v92, v90
	v_pk_add_f32 v[86:87], v[86:87], v[88:89] neg_lo:[0,1] neg_hi:[0,1]
	v_mov_b32_e32 v91, v85
	v_pk_add_f32 v[80:81], v[82:83], v[86:87] neg_lo:[0,1] neg_hi:[0,1]
	s_nop 0
	v_pk_add_f32 v[82:83], v[92:93], v[80:81]
	s_nop 0
	v_pk_add_f32 v[86:87], v[82:83], v[82:83] op_sel:[0,1] op_sel_hi:[1,0]
	s_nop 0
	v_pk_add_f32 v[84:85], v[84:85], v[86:87] op_sel:[1,0] op_sel_hi:[0,1]
	v_mov_b32_e32 v83, v84
	v_pk_add_f32 v[88:89], v[82:83], v[90:91] neg_lo:[0,1] neg_hi:[0,1]
	v_mov_b32_e32 v81, v86
	v_sub_f32_e32 v82, v82, v88
	v_pk_add_f32 v[80:81], v[80:81], v[88:89] neg_lo:[0,1] neg_hi:[0,1]
	v_sub_f32_e32 v82, v90, v82
	v_add_f32_e32 v80, v80, v82
	v_add_f32_e32 v80, v80, v81
	;; [unrolled: 1-line block ×3, first 2 shown]
	v_sub_f32_e32 v82, v81, v84
	v_sub_f32_e32 v80, v80, v82
	v_mul_f32_e32 v82, v95, v81
	v_fma_f32 v81, v95, v81, -v82
	v_fmac_f32_e32 v81, v95, v80
	v_add_f32_e32 v80, v82, v81
	v_cmp_class_f32_e64 s[0:1], v82, s20
	v_sub_f32_e32 v83, v80, v82
	v_sub_f32_e32 v81, v81, v83
	v_cndmask_b32_e64 v80, v80, v82, s[0:1]
	v_cmp_eq_f32_e64 s[0:1], s18, v80
	s_nop 1
	v_cndmask_b32_e64 v82, 0, v66, s[0:1]
	v_sub_f32_e32 v83, v80, v82
	v_mul_f32_e32 v84, 0x3fb8aa3b, v83
	v_fma_f32 v85, v83, s19, -v84
	v_rndne_f32_e32 v86, v84
	v_fmac_f32_e32 v85, 0x32a5705f, v83
	v_sub_f32_e32 v84, v84, v86
	v_add_f32_e32 v84, v84, v85
	v_exp_f32_e32 v84, v84
	v_cvt_i32_f32_e32 v85, v86
	v_cmp_neq_f32_e64 s[0:1], |v80|, s22
	s_nop 1
	v_cndmask_b32_e64 v80, 0, v81, s[0:1]
	v_ldexp_f32 v81, v84, v85
	v_cmp_ngt_f32_e64 s[0:1], s21, v83
	v_add_f32_e32 v80, v82, v80
	s_nop 0
	v_cndmask_b32_e64 v81, 0, v81, s[0:1]
	v_cmp_nlt_f32_e64 s[0:1], s18, v83
	s_nop 1
	v_cndmask_b32_e64 v81, v67, v81, s[0:1]
	v_fma_f32 v80, v81, v80, v81
	v_cmp_class_f32_e64 s[0:1], v81, s20
	s_nop 1
	v_cndmask_b32_e64 v80, v80, v81, s[0:1]
	v_trunc_f32_e32 v81, v95
	v_cmp_eq_f32_e64 s[0:1], v81, v95
	v_mul_f32_e32 v81, 0.5, v95
	v_trunc_f32_e32 v82, v81
	v_cmp_neq_f32_e64 s[2:3], v82, v81
	s_and_b64 s[2:3], s[0:1], s[2:3]
	s_nop 0
	v_cndmask_b32_e64 v81, 1.0, v94, s[2:3]
	v_bfi_b32 v80, s23, v80, v81
	v_cndmask_b32_e64 v81, v78, v80, s[0:1]
	v_cmp_gt_f32_e64 s[0:1], 0, v94
	v_cndmask_b32_e64 v82, 0, v94, s[2:3]
	s_nop 0
	v_cndmask_b32_e64 v80, v80, v81, s[0:1]
	v_cmp_eq_f32_e64 s[0:1], 0, v94
	s_nop 1
	v_cndmask_b32_e64 v81, v67, 0, s[0:1]
	v_bfi_b32 v81, s23, v81, v82
	s_or_b64 s[0:1], s[0:1], s[4:5]
	v_cndmask_b32_e64 v80, v80, v81, s[0:1]
	v_cmp_o_f32_e64 s[0:1], v94, v94
	s_nop 1
	v_cndmask_b32_e64 v92, v78, v80, s[0:1]
	v_mul_f32_e32 v80, v73, v73
	v_fmamk_f32 v81, v80, 0xb94c1982, v76
	v_fmaak_f32 v81, v80, v81, 0xbe2aaa9d
	v_mul_f32_e32 v81, v80, v81
	v_fmac_f32_e32 v73, v73, v81
	v_fmamk_f32 v81, v80, 0x37d75334, v77
	v_fmaak_f32 v81, v80, v81, 0x3d2aabf7
	v_fmaak_f32 v81, v80, v81, 0xbf000004
	v_fma_f32 v80, v80, v81, 1.0
	v_and_b32_e32 v81, 1, v64
	v_lshlrev_b32_e32 v64, 30, v64
	v_cmp_eq_u32_e64 s[0:1], 0, v81
	v_and_b32_e32 v64, 0x80000000, v64
	v_xor_b32_e32 v64, v72, v64
	v_cndmask_b32_e64 v73, v80, v73, s[0:1]
	v_xor_b32_e32 v64, v64, v73
	v_cmp_class_f32_e64 s[0:1], v71, s15
	s_nop 1
	v_cndmask_b32_e64 v64, v78, v64, s[0:1]
	v_cmp_eq_f32_e64 s[0:1], 1.0, v64
	v_frexp_mant_f32_e64 v72, |v64|
	v_cmp_class_f32_e64 s[4:5], v64, s20
	v_cndmask_b32_e64 v71, 2.0, 1.0, s[0:1]
	v_cmp_gt_f32_e64 s[0:1], s16, v72
	s_nop 1
	v_cndmask_b32_e64 v73, 1.0, 2.0, s[0:1]
	v_mul_f32_e32 v72, v72, v73
	v_add_f32_e32 v81, 1.0, v72
	v_rcp_f32_e32 v86, v81
	v_add_f32_e32 v73, -1.0, v81
	v_sub_f32_e32 v83, v72, v73
	v_add_f32_e32 v73, -1.0, v72
	v_mul_f32_e32 v87, v73, v86
	v_mul_f32_e32 v80, v81, v87
	v_fma_f32 v82, v87, v81, -v80
	v_fmac_f32_e32 v82, v87, v83
	v_add_f32_e32 v72, v80, v82
	v_sub_f32_e32 v81, v73, v72
	v_pk_add_f32 v[84:85], v[72:73], v[80:81] neg_lo:[0,1] neg_hi:[0,1]
	v_mov_b32_e32 v83, v72
	v_pk_add_f32 v[72:73], v[84:85], v[82:83] neg_lo:[0,1] neg_hi:[0,1]
	s_nop 0
	v_add_f32_e32 v72, v72, v73
	v_add_f32_e32 v72, v81, v72
	v_mul_f32_e32 v73, v86, v72
	v_add_f32_e32 v72, v87, v73
	v_sub_f32_e32 v80, v72, v87
	v_sub_f32_e32 v88, v73, v80
	v_mul_f32_e32 v73, v72, v72
	v_fma_f32 v81, v72, v72, -v73
	v_add_f32_e32 v80, v88, v88
	v_fmac_f32_e32 v81, v72, v80
	v_add_f32_e32 v80, v73, v81
	v_fmamk_f32 v82, v80, 0x3e76c4e1, v79
	v_fmaak_f32 v82, v80, v82, 0x3ecccdef
	v_sub_f32_e32 v73, v80, v73
	v_sub_f32_e32 v89, v81, v73
	v_mul_f32_e32 v73, v80, v82
	v_fma_f32 v81, v80, v82, -v73
	v_fmac_f32_e32 v81, v89, v82
	v_add_f32_e32 v82, v73, v81
	v_add_f32_e32 v83, 0x3f2aaaaa, v82
	v_sub_f32_e32 v73, v82, v73
	v_sub_f32_e32 v73, v81, v73
	v_add_f32_e32 v81, 0xbf2aaaaa, v83
	v_add_f32_e32 v73, 0x31739010, v73
	v_sub_f32_e32 v81, v82, v81
	v_pk_mul_f32 v[84:85], v[72:73], v[80:81]
	v_pk_add_f32 v[86:87], v[72:73], v[80:81]
	v_fma_f32 v82, v80, v72, -v84
	v_fmac_f32_e32 v82, v80, v88
	v_mov_b32_e32 v85, v87
	v_fmac_f32_e32 v82, v89, v72
	v_pk_add_f32 v[80:81], v[84:85], v[82:83]
	v_ldexp_f32 v90, v88, 1
	v_sub_f32_e32 v73, v80, v84
	v_sub_f32_e32 v73, v82, v73
	;; [unrolled: 1-line block ×3, first 2 shown]
	v_add_f32_e32 v86, v87, v82
	v_pk_mul_f32 v[82:83], v[80:81], v[80:81] op_sel:[0,1] op_sel_hi:[1,0]
	v_cvt_f64_f32_e64 v[84:85], |v64|
	v_frexp_exp_i32_f64_e32 v83, v[84:85]
	v_subbrev_co_u32_e64 v83, s[0:1], 0, v83, s[0:1]
	v_cvt_f32_i32_e32 v83, v83
	v_fma_f32 v84, v80, v81, -v82
	v_fmac_f32_e32 v84, v80, v86
	v_fmac_f32_e32 v84, v73, v81
	v_mul_f32_e32 v80, 0x3f317218, v83
	v_fma_f32 v86, v83, s17, -v80
	v_fmac_f32_e32 v86, 0xb102e308, v83
	v_ldexp_f32 v87, v72, 1
	v_add_f32_e32 v81, v82, v84
	v_pk_add_f32 v[72:73], v[80:81], v[86:87]
	v_mov_b32_e32 v88, v81
	v_mov_b32_e32 v89, v73
	;; [unrolled: 1-line block ×3, first 2 shown]
	v_pk_add_f32 v[82:83], v[88:89], v[82:83] neg_lo:[0,1] neg_hi:[0,1]
	v_mov_b32_e32 v85, v81
	v_pk_add_f32 v[82:83], v[84:85], v[82:83] neg_lo:[0,1] neg_hi:[0,1]
	v_mov_b32_e32 v87, v72
	v_add_f32_e32 v81, v90, v82
	v_add_f32_e32 v81, v81, v83
	v_pk_add_f32 v[82:83], v[72:73], v[80:81] neg_lo:[0,1] neg_hi:[0,1]
	v_pk_add_f32 v[84:85], v[72:73], v[80:81]
	v_mov_b32_e32 v80, v81
	v_mov_b32_e32 v83, v85
	v_pk_add_f32 v[88:89], v[86:87], v[82:83] neg_lo:[0,1] neg_hi:[0,1]
	v_pk_add_f32 v[82:83], v[86:87], v[82:83]
	v_mov_b32_e32 v81, v72
	v_pk_add_f32 v[86:87], v[82:83], v[72:73] op_sel:[1,0] op_sel_hi:[0,1] neg_lo:[0,1] neg_hi:[0,1]
	v_pk_add_f32 v[90:91], v[84:85], v[86:87] op_sel_hi:[1,0] neg_lo:[0,1] neg_hi:[0,1]
	v_mov_b32_e32 v84, v85
	v_mov_b32_e32 v85, v83
	v_pk_mov_b32 v[86:87], v[72:73], v[86:87] op_sel:[1,0]
	v_mov_b32_e32 v90, v88
	v_pk_add_f32 v[84:85], v[84:85], v[86:87] neg_lo:[0,1] neg_hi:[0,1]
	v_mov_b32_e32 v89, v83
	v_pk_add_f32 v[72:73], v[80:81], v[84:85] neg_lo:[0,1] neg_hi:[0,1]
	s_nop 0
	v_pk_add_f32 v[80:81], v[90:91], v[72:73]
	s_nop 0
	v_pk_add_f32 v[84:85], v[80:81], v[80:81] op_sel:[0,1] op_sel_hi:[1,0]
	s_nop 0
	v_pk_add_f32 v[82:83], v[82:83], v[84:85] op_sel:[1,0] op_sel_hi:[0,1]
	v_mov_b32_e32 v81, v82
	v_pk_add_f32 v[86:87], v[80:81], v[88:89] neg_lo:[0,1] neg_hi:[0,1]
	v_mov_b32_e32 v73, v84
	v_sub_f32_e32 v80, v80, v86
	v_pk_add_f32 v[72:73], v[72:73], v[86:87] neg_lo:[0,1] neg_hi:[0,1]
	v_sub_f32_e32 v80, v88, v80
	v_add_f32_e32 v72, v72, v80
	v_add_f32_e32 v72, v72, v73
	;; [unrolled: 1-line block ×3, first 2 shown]
	v_sub_f32_e32 v80, v73, v82
	v_sub_f32_e32 v72, v72, v80
	v_mul_f32_e32 v80, v71, v73
	v_fma_f32 v73, v71, v73, -v80
	v_fmac_f32_e32 v73, v71, v72
	v_add_f32_e32 v72, v80, v73
	v_cmp_class_f32_e64 s[0:1], v80, s20
	v_sub_f32_e32 v81, v72, v80
	v_sub_f32_e32 v73, v73, v81
	v_cndmask_b32_e64 v72, v72, v80, s[0:1]
	v_cmp_eq_f32_e64 s[0:1], s18, v72
	s_nop 1
	v_cndmask_b32_e64 v80, 0, v66, s[0:1]
	v_sub_f32_e32 v81, v72, v80
	v_mul_f32_e32 v82, 0x3fb8aa3b, v81
	v_fma_f32 v83, v81, s19, -v82
	v_rndne_f32_e32 v84, v82
	v_fmac_f32_e32 v83, 0x32a5705f, v81
	v_sub_f32_e32 v82, v82, v84
	v_add_f32_e32 v82, v82, v83
	v_exp_f32_e32 v82, v82
	v_cvt_i32_f32_e32 v83, v84
	v_cmp_neq_f32_e64 s[0:1], |v72|, s22
	s_nop 1
	v_cndmask_b32_e64 v72, 0, v73, s[0:1]
	v_ldexp_f32 v73, v82, v83
	v_cmp_ngt_f32_e64 s[0:1], s21, v81
	v_add_f32_e32 v72, v80, v72
	s_nop 0
	v_cndmask_b32_e64 v73, 0, v73, s[0:1]
	v_cmp_nlt_f32_e64 s[0:1], s18, v81
	s_nop 1
	v_cndmask_b32_e64 v73, v67, v73, s[0:1]
	v_fma_f32 v72, v73, v72, v73
	v_cmp_class_f32_e64 s[0:1], v73, s20
	s_nop 1
	v_cndmask_b32_e64 v72, v72, v73, s[0:1]
	v_trunc_f32_e32 v73, v71
	v_cmp_eq_f32_e64 s[0:1], v73, v71
	v_mul_f32_e32 v71, 0.5, v71
	v_trunc_f32_e32 v73, v71
	v_cmp_neq_f32_e64 s[2:3], v73, v71
	s_and_b64 s[2:3], s[0:1], s[2:3]
	s_nop 0
	v_cndmask_b32_e64 v71, 1.0, v64, s[2:3]
	v_bfi_b32 v71, s23, v72, v71
	v_cndmask_b32_e64 v72, v78, v71, s[0:1]
	v_cmp_gt_f32_e64 s[0:1], 0, v64
	v_cndmask_b32_e64 v73, 0, v64, s[2:3]
	s_nop 0
	v_cndmask_b32_e64 v71, v71, v72, s[0:1]
	v_cmp_eq_f32_e64 s[0:1], 0, v64
	s_nop 1
	v_cndmask_b32_e64 v72, v67, 0, s[0:1]
	v_bfi_b32 v72, s23, v72, v73
	s_or_b64 s[0:1], s[0:1], s[4:5]
	v_cndmask_b32_e64 v71, v71, v72, s[0:1]
	v_fma_f32 v71, v71, s37, 1.0
	v_cmp_o_f32_e64 s[0:1], v64, v64
	s_cmp_lg_u32 s38, 29
	s_nop 0
	v_cndmask_b32_e64 v64, v78, v71, s[0:1]
	v_fmac_f32_e32 v68, v92, v64
	s_cbranch_scc0 .LBB1_22
; %bb.21:                               ;   in Loop: Header=BB1_16 Depth=1
	s_mov_b32 s24, s38
	s_branch .LBB1_16
.LBB1_22:
	v_cmp_lt_f32_e64 s[0:1], v63, v68
	s_and_b64 exec, exec, s[0:1]
	s_cbranch_execz .LBB1_154
; %bb.23:
	global_store_dwordx4 v[60:61], v[0:3], off
	global_store_dwordx4 v[60:61], v[4:7], off offset:16
	global_store_dwordx4 v[60:61], v[8:11], off offset:32
	;; [unrolled: 1-line block ×6, first 2 shown]
	global_store_dwordx2 v[60:61], v[28:29], off offset:112
                                        ; implicit-def: $vgpr30
                                        ; implicit-def: $vgpr31
	s_and_saveexec_b64 s[0:1], s[10:11]
	s_xor_b64 s[10:11], exec, s[0:1]
	s_cbranch_execz .LBB1_25
; %bb.24:
	v_lshrrev_b32_e32 v30, 23, v75
	v_add_u32_e32 v30, 0xffffff88, v30
	v_not_b32_e32 v31, 63
	v_cmp_lt_u32_e64 s[0:1], 63, v30
	s_mov_b32 s6, 0xfe5163ab
	v_mov_b32_e32 v33, 0
	v_cndmask_b32_e64 v31, 0, v31, s[0:1]
	v_add_u32_e32 v30, v31, v30
	v_not_b32_e32 v31, 31
	v_cmp_lt_u32_e64 s[2:3], 31, v30
	s_nop 1
	v_cndmask_b32_e64 v32, 0, v31, s[2:3]
	v_add_u32_e32 v30, v32, v30
	v_cmp_lt_u32_e64 s[4:5], 31, v30
	s_nop 1
	v_cndmask_b32_e64 v31, 0, v31, s[4:5]
	v_add_u32_e32 v44, v31, v30
	v_and_b32_e32 v30, 0x7fffff, v75
	v_or_b32_e32 v45, 0x800000, v30
	v_mad_u64_u32 v[30:31], s[6:7], v45, s6, 0
	v_mov_b32_e32 v32, v31
	s_mov_b32 s6, 0x3c439041
	v_mad_u64_u32 v[34:35], s[6:7], v45, s6, v[32:33]
	v_mov_b32_e32 v32, v35
	s_mov_b32 s6, 0xdb629599
	v_mad_u64_u32 v[36:37], s[6:7], v45, s6, v[32:33]
	v_mov_b32_e32 v32, v37
	s_mov_b32 s6, 0xf534ddc0
	v_mad_u64_u32 v[38:39], s[6:7], v45, s6, v[32:33]
	v_mov_b32_e32 v32, v39
	s_mov_b32 s6, 0xfc2757d1
	v_mad_u64_u32 v[40:41], s[6:7], v45, s6, v[32:33]
	v_mov_b32_e32 v32, v41
	s_mov_b32 s6, 0x4e441529
	v_mad_u64_u32 v[42:43], s[6:7], v45, s6, v[32:33]
	v_mov_b32_e32 v32, v43
	s_mov_b32 s6, 0xa2f9836e
	v_mad_u64_u32 v[32:33], s[6:7], v45, s6, v[32:33]
	v_cndmask_b32_e64 v31, v42, v38, s[0:1]
	v_cndmask_b32_e64 v32, v32, v40, s[0:1]
	;; [unrolled: 1-line block ×10, first 2 shown]
	v_sub_u32_e32 v37, 32, v44
	v_cndmask_b32_e64 v33, v33, v34, s[2:3]
	v_alignbit_b32 v39, v32, v35, v37
	v_cmp_eq_u32_e64 s[6:7], 0, v44
	v_cndmask_b32_e64 v31, v31, v33, s[4:5]
	v_alignbit_b32 v38, v35, v31, v37
	v_cndmask_b32_e64 v32, v39, v32, s[6:7]
	v_cndmask_b32_e64 v30, v36, v30, s[0:1]
	;; [unrolled: 1-line block ×3, first 2 shown]
	v_bfe_u32 v40, v32, 29, 1
	v_cndmask_b32_e64 v30, v34, v30, s[2:3]
	v_alignbit_b32 v38, v32, v35, 30
	v_sub_u32_e32 v41, 0, v40
	v_cndmask_b32_e64 v30, v33, v30, s[4:5]
	v_xor_b32_e32 v38, v38, v41
	v_alignbit_b32 v33, v31, v30, v37
	v_cndmask_b32_e64 v31, v33, v31, s[6:7]
	v_ffbh_u32_e32 v34, v38
	v_alignbit_b32 v33, v35, v31, 30
	v_min_u32_e32 v34, 32, v34
	v_alignbit_b32 v30, v31, v30, 30
	v_xor_b32_e32 v33, v33, v41
	v_sub_u32_e32 v35, 31, v34
	v_xor_b32_e32 v30, v30, v41
	v_alignbit_b32 v36, v38, v33, v35
	v_alignbit_b32 v30, v33, v30, v35
	v_alignbit_b32 v31, v36, v30, 9
	v_ffbh_u32_e32 v33, v31
	v_min_u32_e32 v33, 32, v33
	v_lshrrev_b32_e32 v39, 29, v32
	v_not_b32_e32 v35, v33
	v_alignbit_b32 v30, v31, v30, v35
	v_lshlrev_b32_e32 v31, 31, v39
	v_or_b32_e32 v35, 0x33000000, v31
	v_add_lshl_u32 v33, v33, v34, 23
	v_lshrrev_b32_e32 v30, 9, v30
	v_sub_u32_e32 v33, v35, v33
	v_or_b32_e32 v31, 0.5, v31
	v_lshlrev_b32_e32 v34, 23, v34
	v_or_b32_e32 v30, v33, v30
	v_lshrrev_b32_e32 v33, 9, v36
	v_sub_u32_e32 v31, v31, v34
	v_or_b32_e32 v31, v33, v31
	s_mov_b32 s0, 0x3fc90fda
	v_mul_f32_e32 v33, 0x3fc90fda, v31
	v_fma_f32 v34, v31, s0, -v33
	v_fmamk_f32 v31, v31, 0x33a22168, v34
	v_fmac_f32_e32 v31, 0x3fc90fda, v30
	v_lshrrev_b32_e32 v30, 30, v32
	v_add_f32_e32 v31, v33, v31
	v_add_u32_e32 v30, v40, v30
.LBB1_25:
	s_andn2_saveexec_b64 s[0:1], s[10:11]
	s_cbranch_execz .LBB1_27
; %bb.26:
	s_mov_b32 s2, 0x3f22f983
	v_mul_f32_e64 v30, |v74|, s2
	v_rndne_f32_e32 v31, v30
	s_mov_b32 s2, 0xbfc90fda
	v_cvt_i32_f32_e32 v30, v31
	v_fma_f32 v32, v31, s2, |v74|
	v_fmamk_f32 v32, v31, 0xb3a22168, v32
	v_fmamk_f32 v31, v31, 0xa7c234c4, v32
.LBB1_27:
	s_or_b64 exec, exec, s[0:1]
	v_mul_f32_e32 v34, v31, v31
	v_mov_b32_e32 v32, 0x3c0881c4
	v_fmamk_f32 v33, v34, 0xb94c1982, v32
	v_fmaak_f32 v33, v34, v33, 0xbe2aaa9d
	v_mul_f32_e32 v33, v34, v33
                                        ; implicit-def: $vgpr35
	v_fmac_f32_e32 v31, v31, v33
	v_mov_b32_e32 v33, 0xbab64f3b
	v_fmamk_f32 v35, v34, 0x37d75334, v33
	v_fmaak_f32 v35, v34, v35, 0x3d2aabf7
	v_fmaak_f32 v35, v34, v35, 0xbf000004
	v_fma_f32 v34, v34, v35, 1.0
	v_and_b32_e32 v35, 1, v30
	v_cmp_eq_u32_e64 s[0:1], 0, v35
	v_lshlrev_b32_e32 v30, 30, v30
	s_mov_b32 s12, 0x3f2aaaab
	v_cndmask_b32_e64 v31, v34, v31, s[0:1]
	s_brev_b32 s0, 1
	v_bitop3_b32 v30, v75, v30, s0 bitop3:0x78
	v_xor_b32_e32 v30, v30, v31
	v_xor_b32_e32 v30, v30, v74
	v_mov_b32_e32 v34, 0x7fc00000
	v_cndmask_b32_e32 v48, v34, v30, vcc
	v_cmp_eq_f32_e32 vcc, 1.0, v48
	v_frexp_mant_f32_e64 v30, |v48|
                                        ; implicit-def: $vgpr36
                                        ; implicit-def: $vgpr36
	s_mov_b32 s13, 0x3f317218
	v_cndmask_b32_e64 v49, 2.0, 1.0, vcc
	v_cmp_gt_f32_e32 vcc, s12, v30
	s_movk_i32 s14, 0x204
	s_mov_b32 s16, 0x42b17218
	v_cndmask_b32_e64 v31, 1.0, 2.0, vcc
	v_mul_f32_e32 v30, v30, v31
	v_add_f32_e32 v35, 1.0, v30
	v_rcp_f32_e32 v42, v35
	v_add_f32_e32 v31, -1.0, v35
	v_sub_f32_e32 v37, v30, v31
	v_add_f32_e32 v31, -1.0, v30
	v_mul_f32_e32 v43, v31, v42
	v_mul_f32_e32 v36, v35, v43
	v_fma_f32 v38, v43, v35, -v36
	v_fmac_f32_e32 v38, v43, v37
	v_add_f32_e32 v30, v36, v38
	v_sub_f32_e32 v37, v31, v30
	v_pk_add_f32 v[40:41], v[30:31], v[36:37] neg_lo:[0,1] neg_hi:[0,1]
	v_mov_b32_e32 v39, v30
	v_pk_add_f32 v[30:31], v[40:41], v[38:39] neg_lo:[0,1] neg_hi:[0,1]
                                        ; implicit-def: $vgpr39
	s_mov_b32 s17, 0x3fb8aa3b
	v_add_f32_e32 v30, v30, v31
	v_add_f32_e32 v30, v37, v30
	v_mul_f32_e32 v31, v42, v30
	v_add_f32_e32 v30, v43, v31
	v_sub_f32_e32 v35, v30, v43
	v_sub_f32_e32 v44, v31, v35
	v_mul_f32_e32 v31, v30, v30
	v_fma_f32 v37, v30, v30, -v31
	v_add_f32_e32 v35, v44, v44
	v_fmac_f32_e32 v37, v30, v35
	v_add_f32_e32 v36, v31, v37
	v_mov_b32_e32 v35, 0x3e91f4c4
	v_fmamk_f32 v38, v36, 0x3e76c4e1, v35
	v_fmaak_f32 v38, v36, v38, 0x3ecccdef
	v_sub_f32_e32 v31, v36, v31
	v_sub_f32_e32 v45, v37, v31
	v_mul_f32_e32 v31, v36, v38
	v_fma_f32 v37, v36, v38, -v31
	v_fmac_f32_e32 v37, v45, v38
	v_add_f32_e32 v38, v31, v37
	v_add_f32_e32 v39, 0x3f2aaaaa, v38
	v_sub_f32_e32 v31, v38, v31
	v_sub_f32_e32 v31, v37, v31
	v_add_f32_e32 v37, 0xbf2aaaaa, v39
	v_add_f32_e32 v31, 0x31739010, v31
	v_sub_f32_e32 v37, v38, v37
	v_pk_mul_f32 v[40:41], v[30:31], v[36:37]
	v_pk_add_f32 v[42:43], v[30:31], v[36:37]
	v_fma_f32 v38, v36, v30, -v40
	v_fmac_f32_e32 v38, v36, v44
	v_mov_b32_e32 v41, v43
	v_fmac_f32_e32 v38, v45, v30
	v_pk_add_f32 v[36:37], v[40:41], v[38:39]
	v_ldexp_f32 v46, v44, 1
	v_sub_f32_e32 v31, v36, v40
	v_sub_f32_e32 v31, v38, v31
	;; [unrolled: 1-line block ×3, first 2 shown]
	v_add_f32_e32 v41, v43, v38
	v_pk_mul_f32 v[38:39], v[36:37], v[36:37] op_sel:[0,1] op_sel_hi:[1,0]
	v_cvt_f64_f32_e64 v[42:43], |v48|
	v_frexp_exp_i32_f64_e32 v39, v[42:43]
	v_subbrev_co_u32_e32 v39, vcc, 0, v39, vcc
	v_cvt_f32_i32_e32 v39, v39
	v_fma_f32 v40, v36, v37, -v38
	v_fmac_f32_e32 v40, v36, v41
	v_fmac_f32_e32 v40, v31, v37
	v_mul_f32_e32 v36, 0x3f317218, v39
	v_fma_f32 v42, v39, s13, -v36
	v_fmac_f32_e32 v42, 0xb102e308, v39
	v_ldexp_f32 v43, v30, 1
	v_add_f32_e32 v37, v38, v40
	v_pk_add_f32 v[30:31], v[36:37], v[42:43]
	v_mov_b32_e32 v44, v37
	v_mov_b32_e32 v45, v31
	;; [unrolled: 1-line block ×3, first 2 shown]
	v_pk_add_f32 v[38:39], v[44:45], v[38:39] neg_lo:[0,1] neg_hi:[0,1]
	v_mov_b32_e32 v41, v37
	v_pk_add_f32 v[38:39], v[40:41], v[38:39] neg_lo:[0,1] neg_hi:[0,1]
	v_mov_b32_e32 v43, v30
	v_add_f32_e32 v37, v46, v38
	v_add_f32_e32 v37, v37, v39
	v_pk_add_f32 v[38:39], v[30:31], v[36:37] neg_lo:[0,1] neg_hi:[0,1]
	v_pk_add_f32 v[40:41], v[30:31], v[36:37]
	v_mov_b32_e32 v36, v37
	v_mov_b32_e32 v39, v41
	v_pk_add_f32 v[44:45], v[42:43], v[38:39] neg_lo:[0,1] neg_hi:[0,1]
	v_pk_add_f32 v[38:39], v[42:43], v[38:39]
	v_mov_b32_e32 v37, v30
	v_pk_add_f32 v[42:43], v[38:39], v[30:31] op_sel:[1,0] op_sel_hi:[0,1] neg_lo:[0,1] neg_hi:[0,1]
	v_pk_add_f32 v[46:47], v[40:41], v[42:43] op_sel_hi:[1,0] neg_lo:[0,1] neg_hi:[0,1]
	v_mov_b32_e32 v40, v41
	v_mov_b32_e32 v41, v39
	v_pk_mov_b32 v[42:43], v[30:31], v[42:43] op_sel:[1,0]
	v_mov_b32_e32 v46, v44
	v_pk_add_f32 v[40:41], v[40:41], v[42:43] neg_lo:[0,1] neg_hi:[0,1]
	v_mov_b32_e32 v45, v39
	v_pk_add_f32 v[30:31], v[36:37], v[40:41] neg_lo:[0,1] neg_hi:[0,1]
	s_mov_b32 s15, 0x7f800000
	v_pk_add_f32 v[36:37], v[46:47], v[30:31]
	s_mov_b32 s18, 0xc2ce8ed0
	v_pk_add_f32 v[40:41], v[36:37], v[36:37] op_sel:[0,1] op_sel_hi:[1,0]
	s_brev_b32 s19, -2
	v_pk_add_f32 v[38:39], v[38:39], v[40:41] op_sel:[1,0] op_sel_hi:[0,1]
	v_mov_b32_e32 v37, v38
	v_pk_add_f32 v[42:43], v[36:37], v[44:45] neg_lo:[0,1] neg_hi:[0,1]
	v_mov_b32_e32 v31, v40
	v_sub_f32_e32 v36, v36, v42
	v_pk_add_f32 v[30:31], v[30:31], v[42:43] neg_lo:[0,1] neg_hi:[0,1]
	v_sub_f32_e32 v36, v44, v36
	v_add_f32_e32 v30, v30, v36
	v_add_f32_e32 v30, v30, v31
	;; [unrolled: 1-line block ×3, first 2 shown]
	v_sub_f32_e32 v36, v31, v38
	v_sub_f32_e32 v30, v30, v36
	v_mul_f32_e32 v36, v49, v31
	v_fma_f32 v31, v49, v31, -v36
	v_fmac_f32_e32 v31, v49, v30
	v_add_f32_e32 v30, v36, v31
	v_cmp_class_f32_e64 vcc, v36, s14
	v_sub_f32_e32 v37, v30, v36
	v_sub_f32_e32 v31, v31, v37
	v_cndmask_b32_e32 v30, v30, v36, vcc
	v_mov_b32_e32 v36, 0x37000000
	v_cmp_eq_f32_e32 vcc, s16, v30
	v_cmp_class_f32_e64 s[2:3], v48, s14
	s_mov_b64 s[6:7], 1
	v_cndmask_b32_e32 v37, 0, v36, vcc
	v_sub_f32_e32 v38, v30, v37
	v_mul_f32_e32 v39, 0x3fb8aa3b, v38
	v_fma_f32 v40, v38, s17, -v39
	v_rndne_f32_e32 v41, v39
	v_fmac_f32_e32 v40, 0x32a5705f, v38
	v_sub_f32_e32 v39, v39, v41
	v_add_f32_e32 v39, v39, v40
	v_exp_f32_e32 v39, v39
	v_cvt_i32_f32_e32 v40, v41
	v_cmp_neq_f32_e64 vcc, |v30|, s15
	s_mov_b32 s20, 0x3e800000
	s_brev_b32 s21, 18
	v_cndmask_b32_e32 v30, 0, v31, vcc
	v_ldexp_f32 v31, v39, v40
	v_cmp_ngt_f32_e32 vcc, s18, v38
	v_add_f32_e32 v30, v37, v30
	v_mov_b32_e32 v37, 0x7f800000
	v_cndmask_b32_e32 v31, 0, v31, vcc
	v_cmp_nlt_f32_e32 vcc, s16, v38
	s_mov_b32 s22, 0xfe5163ab
	s_mov_b32 s23, 0x3c439041
	v_cndmask_b32_e32 v31, v37, v31, vcc
	v_fma_f32 v30, v31, v30, v31
	v_cmp_class_f32_e64 vcc, v31, s14
	s_mov_b32 s24, 0xdb629599
	s_mov_b32 s25, 0xf534ddc0
	v_cndmask_b32_e32 v30, v30, v31, vcc
	v_trunc_f32_e32 v31, v49
	v_cmp_eq_f32_e32 vcc, v31, v49
	v_mul_f32_e32 v31, 0.5, v49
	v_trunc_f32_e32 v38, v31
	v_cmp_neq_f32_e64 s[0:1], v38, v31
	s_and_b64 s[0:1], vcc, s[0:1]
	s_mov_b32 s26, 0xfc2757d1
	v_cndmask_b32_e64 v31, 1.0, v48, s[0:1]
	v_bfi_b32 v30, s19, v30, v31
	v_cndmask_b32_e32 v31, v34, v30, vcc
	v_cmp_gt_f32_e32 vcc, 0, v48
	v_cndmask_b32_e64 v38, 0, v48, s[0:1]
	s_mov_b32 s27, 0x4e441529
	v_cndmask_b32_e32 v30, v30, v31, vcc
	v_cmp_eq_f32_e32 vcc, 0, v48
	s_mov_b32 s28, 0xa2f9836e
	s_mov_b32 s29, 0x3fc90fda
	v_cndmask_b32_e64 v31, v37, 0, vcc
	v_bfi_b32 v31, s19, v31, v38
	s_or_b64 vcc, vcc, s[2:3]
	v_cndmask_b32_e32 v30, v30, v31, vcc
	v_cmp_o_f32_e32 vcc, v48, v48
	v_mov_b32_e32 v31, 0
	s_mov_b32 s30, 0x3f22f983
	v_cndmask_b32_e32 v30, v34, v30, vcc
	v_add_f32_e32 v38, v62, v30
	s_mov_b32 s31, 0xbfc90fda
	s_movk_i32 s33, 0x1f8
	s_mov_b32 s34, 0x41200000
	v_not_b32_e32 v39, 63
	v_not_b32_e32 v40, 31
	s_branch .LBB1_29
.LBB1_28:                               ;   in Loop: Header=BB1_29 Depth=1
	s_or_b64 exec, exec, s[0:1]
	s_add_i32 s0, s6, -1
	s_set_gpr_idx_on s0, gpr_idx(SRC0)
	v_mov_b32_e32 v44, v0
	s_set_gpr_idx_off
	v_add_f32_e32 v44, -1.0, v44
	v_fma_f32 v44, v44, s20, 1.0
	v_add_f32_e32 v58, -1.0, v44
	v_cmp_eq_f32_e32 vcc, 1.0, v58
	v_frexp_mant_f32_e64 v44, |v58|
	v_cmp_class_f32_e64 s[2:3], v58, s14
	v_cndmask_b32_e64 v59, 2.0, 1.0, vcc
	v_cmp_gt_f32_e32 vcc, s12, v44
	v_xor_b32_e32 v42, v42, v41
	s_nop 0
	v_cndmask_b32_e64 v45, 1.0, 2.0, vcc
	v_mul_f32_e32 v44, v44, v45
	v_add_f32_e32 v47, 1.0, v44
	v_rcp_f32_e32 v52, v47
	v_add_f32_e32 v45, -1.0, v47
	v_sub_f32_e32 v49, v44, v45
	v_add_f32_e32 v45, -1.0, v44
	v_mul_f32_e32 v53, v45, v52
	v_mul_f32_e32 v46, v47, v53
	v_fma_f32 v48, v53, v47, -v46
	v_fmac_f32_e32 v48, v53, v49
	v_add_f32_e32 v44, v46, v48
	v_sub_f32_e32 v47, v45, v44
	v_pk_add_f32 v[50:51], v[44:45], v[46:47] neg_lo:[0,1] neg_hi:[0,1]
	v_mov_b32_e32 v49, v44
	v_pk_add_f32 v[44:45], v[50:51], v[48:49] neg_lo:[0,1] neg_hi:[0,1]
	s_nop 0
	v_add_f32_e32 v44, v44, v45
	v_add_f32_e32 v44, v47, v44
	v_mul_f32_e32 v45, v52, v44
	v_add_f32_e32 v44, v53, v45
	v_sub_f32_e32 v46, v44, v53
	v_sub_f32_e32 v54, v45, v46
	v_mul_f32_e32 v45, v44, v44
	v_fma_f32 v47, v44, v44, -v45
	v_add_f32_e32 v46, v54, v54
	v_fmac_f32_e32 v47, v44, v46
	v_add_f32_e32 v46, v45, v47
	v_fmamk_f32 v48, v46, 0x3e76c4e1, v35
	v_fmaak_f32 v48, v46, v48, 0x3ecccdef
	v_sub_f32_e32 v45, v46, v45
	v_sub_f32_e32 v55, v47, v45
	v_mul_f32_e32 v45, v46, v48
	v_fma_f32 v47, v46, v48, -v45
	v_fmac_f32_e32 v47, v55, v48
	v_add_f32_e32 v48, v45, v47
	v_add_f32_e32 v49, 0x3f2aaaaa, v48
	v_sub_f32_e32 v45, v48, v45
	v_sub_f32_e32 v45, v47, v45
	v_add_f32_e32 v47, 0xbf2aaaaa, v49
	v_add_f32_e32 v45, 0x31739010, v45
	v_sub_f32_e32 v47, v48, v47
	v_pk_mul_f32 v[50:51], v[44:45], v[46:47]
	v_pk_add_f32 v[52:53], v[44:45], v[46:47]
	v_fma_f32 v48, v46, v44, -v50
	v_fmac_f32_e32 v48, v46, v54
	v_mov_b32_e32 v51, v53
	v_fmac_f32_e32 v48, v55, v44
	v_pk_add_f32 v[46:47], v[50:51], v[48:49]
	v_ldexp_f32 v56, v54, 1
	v_sub_f32_e32 v45, v46, v50
	v_sub_f32_e32 v45, v48, v45
	;; [unrolled: 1-line block ×3, first 2 shown]
	v_add_f32_e32 v52, v53, v48
	v_pk_mul_f32 v[48:49], v[46:47], v[46:47] op_sel:[0,1] op_sel_hi:[1,0]
	v_cvt_f64_f32_e64 v[50:51], |v58|
	v_frexp_exp_i32_f64_e32 v49, v[50:51]
	v_subbrev_co_u32_e32 v49, vcc, 0, v49, vcc
	v_cvt_f32_i32_e32 v49, v49
	v_fma_f32 v50, v46, v47, -v48
	v_fmac_f32_e32 v50, v46, v52
	v_fmac_f32_e32 v50, v45, v47
	v_mul_f32_e32 v46, 0x3f317218, v49
	v_fma_f32 v52, v49, s13, -v46
	v_fmac_f32_e32 v52, 0xb102e308, v49
	v_ldexp_f32 v53, v44, 1
	v_add_f32_e32 v47, v48, v50
	v_pk_add_f32 v[44:45], v[46:47], v[52:53]
	v_mov_b32_e32 v54, v47
	v_mov_b32_e32 v55, v45
	;; [unrolled: 1-line block ×3, first 2 shown]
	v_pk_add_f32 v[48:49], v[54:55], v[48:49] neg_lo:[0,1] neg_hi:[0,1]
	v_mov_b32_e32 v51, v47
	v_pk_add_f32 v[48:49], v[50:51], v[48:49] neg_lo:[0,1] neg_hi:[0,1]
	v_mov_b32_e32 v53, v44
	v_add_f32_e32 v47, v56, v48
	v_add_f32_e32 v47, v47, v49
	v_pk_add_f32 v[48:49], v[44:45], v[46:47] neg_lo:[0,1] neg_hi:[0,1]
	v_pk_add_f32 v[50:51], v[44:45], v[46:47]
	v_mov_b32_e32 v46, v47
	v_mov_b32_e32 v49, v51
	v_pk_add_f32 v[54:55], v[52:53], v[48:49] neg_lo:[0,1] neg_hi:[0,1]
	v_pk_add_f32 v[48:49], v[52:53], v[48:49]
	v_mov_b32_e32 v47, v44
	v_pk_add_f32 v[52:53], v[48:49], v[44:45] op_sel:[1,0] op_sel_hi:[0,1] neg_lo:[0,1] neg_hi:[0,1]
	v_pk_add_f32 v[56:57], v[50:51], v[52:53] op_sel_hi:[1,0] neg_lo:[0,1] neg_hi:[0,1]
	v_mov_b32_e32 v50, v51
	v_mov_b32_e32 v51, v49
	v_pk_mov_b32 v[52:53], v[44:45], v[52:53] op_sel:[1,0]
	v_mov_b32_e32 v56, v54
	v_pk_add_f32 v[50:51], v[50:51], v[52:53] neg_lo:[0,1] neg_hi:[0,1]
	v_mov_b32_e32 v55, v49
	v_pk_add_f32 v[44:45], v[46:47], v[50:51] neg_lo:[0,1] neg_hi:[0,1]
	s_nop 0
	v_pk_add_f32 v[46:47], v[56:57], v[44:45]
	s_nop 0
	v_pk_add_f32 v[50:51], v[46:47], v[46:47] op_sel:[0,1] op_sel_hi:[1,0]
	s_nop 0
	v_pk_add_f32 v[48:49], v[48:49], v[50:51] op_sel:[1,0] op_sel_hi:[0,1]
	v_mov_b32_e32 v47, v48
	v_pk_add_f32 v[52:53], v[46:47], v[54:55] neg_lo:[0,1] neg_hi:[0,1]
	v_mov_b32_e32 v45, v50
	v_sub_f32_e32 v46, v46, v52
	v_pk_add_f32 v[44:45], v[44:45], v[52:53] neg_lo:[0,1] neg_hi:[0,1]
	v_sub_f32_e32 v46, v54, v46
	v_add_f32_e32 v44, v44, v46
	v_add_f32_e32 v44, v44, v45
	;; [unrolled: 1-line block ×3, first 2 shown]
	v_sub_f32_e32 v46, v45, v48
	v_sub_f32_e32 v44, v44, v46
	v_mul_f32_e32 v46, v59, v45
	v_fma_f32 v45, v59, v45, -v46
	v_fmac_f32_e32 v45, v59, v44
	v_add_f32_e32 v44, v46, v45
	v_cmp_class_f32_e64 vcc, v46, s14
	v_sub_f32_e32 v47, v44, v46
	v_sub_f32_e32 v45, v45, v47
	v_cndmask_b32_e32 v44, v44, v46, vcc
	v_cmp_eq_f32_e32 vcc, s16, v44
	s_nop 1
	v_cndmask_b32_e32 v46, 0, v36, vcc
	v_sub_f32_e32 v47, v44, v46
	v_mul_f32_e32 v48, 0x3fb8aa3b, v47
	v_fma_f32 v49, v47, s17, -v48
	v_rndne_f32_e32 v50, v48
	v_fmac_f32_e32 v49, 0x32a5705f, v47
	v_sub_f32_e32 v48, v48, v50
	v_add_f32_e32 v48, v48, v49
	v_exp_f32_e32 v48, v48
	v_cvt_i32_f32_e32 v49, v50
	v_cmp_neq_f32_e64 vcc, |v44|, s15
	s_nop 1
	v_cndmask_b32_e32 v44, 0, v45, vcc
	v_ldexp_f32 v45, v48, v49
	v_cmp_ngt_f32_e32 vcc, s18, v47
	v_add_f32_e32 v44, v46, v44
	s_nop 0
	v_cndmask_b32_e32 v45, 0, v45, vcc
	v_cmp_nlt_f32_e32 vcc, s16, v47
	s_nop 1
	v_cndmask_b32_e32 v45, v37, v45, vcc
	v_fma_f32 v44, v45, v44, v45
	v_cmp_class_f32_e64 vcc, v45, s14
	s_nop 1
	v_cndmask_b32_e32 v44, v44, v45, vcc
	v_trunc_f32_e32 v45, v59
	v_cmp_eq_f32_e32 vcc, v45, v59
	v_mul_f32_e32 v45, 0.5, v59
	v_trunc_f32_e32 v46, v45
	v_cmp_neq_f32_e64 s[0:1], v46, v45
	s_and_b64 s[0:1], vcc, s[0:1]
	s_nop 0
	v_cndmask_b32_e64 v45, 1.0, v58, s[0:1]
	v_bfi_b32 v44, s19, v44, v45
	v_cndmask_b32_e32 v45, v34, v44, vcc
	v_cmp_gt_f32_e32 vcc, 0, v58
	v_cndmask_b32_e64 v46, 0, v58, s[0:1]
	s_nop 0
	v_cndmask_b32_e32 v44, v44, v45, vcc
	v_cmp_eq_f32_e32 vcc, 0, v58
	s_nop 1
	v_cndmask_b32_e64 v45, v37, 0, vcc
	v_bfi_b32 v45, s19, v45, v46
	s_or_b64 vcc, vcc, s[2:3]
	v_cndmask_b32_e32 v44, v44, v45, vcc
	v_cmp_o_f32_e32 vcc, v58, v58
	s_nop 1
	v_cndmask_b32_e32 v56, v34, v44, vcc
	v_mul_f32_e32 v44, v43, v43
	v_fmamk_f32 v45, v44, 0xb94c1982, v32
	v_fmaak_f32 v45, v44, v45, 0xbe2aaa9d
	v_mul_f32_e32 v45, v44, v45
	v_fmac_f32_e32 v43, v43, v45
	v_fmamk_f32 v45, v44, 0x37d75334, v33
	v_fmaak_f32 v45, v44, v45, 0x3d2aabf7
	v_fmaak_f32 v45, v44, v45, 0xbf000004
	v_fma_f32 v44, v44, v45, 1.0
	v_and_b32_e32 v45, 1, v30
	v_lshlrev_b32_e32 v30, 30, v30
	v_cmp_eq_u32_e32 vcc, 0, v45
	v_and_b32_e32 v30, 0x80000000, v30
	v_xor_b32_e32 v30, v42, v30
	v_cndmask_b32_e32 v43, v44, v43, vcc
	v_xor_b32_e32 v30, v30, v43
	v_cmp_class_f32_e64 vcc, v41, s33
	s_nop 1
	v_cndmask_b32_e32 v30, v34, v30, vcc
	v_cmp_eq_f32_e32 vcc, 1.0, v30
	v_frexp_mant_f32_e64 v42, |v30|
	v_cmp_class_f32_e64 s[2:3], v30, s14
	v_cndmask_b32_e64 v41, 2.0, 1.0, vcc
	v_cmp_gt_f32_e32 vcc, s12, v42
	s_nop 1
	v_cndmask_b32_e64 v43, 1.0, 2.0, vcc
	v_mul_f32_e32 v42, v42, v43
	v_add_f32_e32 v45, 1.0, v42
	v_rcp_f32_e32 v50, v45
	v_add_f32_e32 v43, -1.0, v45
	v_sub_f32_e32 v47, v42, v43
	v_add_f32_e32 v43, -1.0, v42
	v_mul_f32_e32 v51, v43, v50
	v_mul_f32_e32 v44, v45, v51
	v_fma_f32 v46, v51, v45, -v44
	v_fmac_f32_e32 v46, v51, v47
	v_add_f32_e32 v42, v44, v46
	v_sub_f32_e32 v45, v43, v42
	v_pk_add_f32 v[48:49], v[42:43], v[44:45] neg_lo:[0,1] neg_hi:[0,1]
	v_mov_b32_e32 v47, v42
	v_pk_add_f32 v[42:43], v[48:49], v[46:47] neg_lo:[0,1] neg_hi:[0,1]
	s_nop 0
	v_add_f32_e32 v42, v42, v43
	v_add_f32_e32 v42, v45, v42
	v_mul_f32_e32 v43, v50, v42
	v_add_f32_e32 v42, v51, v43
	v_sub_f32_e32 v44, v42, v51
	v_sub_f32_e32 v52, v43, v44
	v_mul_f32_e32 v43, v42, v42
	v_fma_f32 v45, v42, v42, -v43
	v_add_f32_e32 v44, v52, v52
	v_fmac_f32_e32 v45, v42, v44
	v_add_f32_e32 v44, v43, v45
	v_fmamk_f32 v46, v44, 0x3e76c4e1, v35
	v_fmaak_f32 v46, v44, v46, 0x3ecccdef
	v_sub_f32_e32 v43, v44, v43
	v_sub_f32_e32 v53, v45, v43
	v_mul_f32_e32 v43, v44, v46
	v_fma_f32 v45, v44, v46, -v43
	v_fmac_f32_e32 v45, v53, v46
	v_add_f32_e32 v46, v43, v45
	v_add_f32_e32 v47, 0x3f2aaaaa, v46
	v_sub_f32_e32 v43, v46, v43
	v_sub_f32_e32 v43, v45, v43
	v_add_f32_e32 v45, 0xbf2aaaaa, v47
	v_add_f32_e32 v43, 0x31739010, v43
	v_sub_f32_e32 v45, v46, v45
	v_pk_mul_f32 v[48:49], v[42:43], v[44:45]
	v_pk_add_f32 v[50:51], v[42:43], v[44:45]
	v_fma_f32 v46, v44, v42, -v48
	v_fmac_f32_e32 v46, v44, v52
	v_mov_b32_e32 v49, v51
	v_fmac_f32_e32 v46, v53, v42
	v_pk_add_f32 v[44:45], v[48:49], v[46:47]
	v_ldexp_f32 v54, v52, 1
	v_sub_f32_e32 v43, v44, v48
	v_sub_f32_e32 v43, v46, v43
	;; [unrolled: 1-line block ×3, first 2 shown]
	v_add_f32_e32 v50, v51, v46
	v_pk_mul_f32 v[46:47], v[44:45], v[44:45] op_sel:[0,1] op_sel_hi:[1,0]
	v_cvt_f64_f32_e64 v[48:49], |v30|
	v_frexp_exp_i32_f64_e32 v47, v[48:49]
	v_subbrev_co_u32_e32 v47, vcc, 0, v47, vcc
	v_cvt_f32_i32_e32 v47, v47
	v_fma_f32 v48, v44, v45, -v46
	v_fmac_f32_e32 v48, v44, v50
	v_fmac_f32_e32 v48, v43, v45
	v_mul_f32_e32 v44, 0x3f317218, v47
	v_fma_f32 v50, v47, s13, -v44
	v_fmac_f32_e32 v50, 0xb102e308, v47
	v_ldexp_f32 v51, v42, 1
	v_add_f32_e32 v45, v46, v48
	v_pk_add_f32 v[42:43], v[44:45], v[50:51]
	v_mov_b32_e32 v52, v45
	v_mov_b32_e32 v53, v43
	v_mov_b32_e32 v47, v51
	v_pk_add_f32 v[46:47], v[52:53], v[46:47] neg_lo:[0,1] neg_hi:[0,1]
	v_mov_b32_e32 v49, v45
	v_pk_add_f32 v[46:47], v[48:49], v[46:47] neg_lo:[0,1] neg_hi:[0,1]
	v_mov_b32_e32 v51, v42
	v_add_f32_e32 v45, v54, v46
	v_add_f32_e32 v45, v45, v47
	v_pk_add_f32 v[46:47], v[42:43], v[44:45] neg_lo:[0,1] neg_hi:[0,1]
	v_pk_add_f32 v[48:49], v[42:43], v[44:45]
	v_mov_b32_e32 v44, v45
	v_mov_b32_e32 v47, v49
	v_pk_add_f32 v[52:53], v[50:51], v[46:47] neg_lo:[0,1] neg_hi:[0,1]
	v_pk_add_f32 v[46:47], v[50:51], v[46:47]
	v_mov_b32_e32 v45, v42
	v_pk_add_f32 v[50:51], v[46:47], v[42:43] op_sel:[1,0] op_sel_hi:[0,1] neg_lo:[0,1] neg_hi:[0,1]
	v_pk_add_f32 v[54:55], v[48:49], v[50:51] op_sel_hi:[1,0] neg_lo:[0,1] neg_hi:[0,1]
	v_mov_b32_e32 v48, v49
	v_mov_b32_e32 v49, v47
	v_pk_mov_b32 v[50:51], v[42:43], v[50:51] op_sel:[1,0]
	v_mov_b32_e32 v54, v52
	v_pk_add_f32 v[48:49], v[48:49], v[50:51] neg_lo:[0,1] neg_hi:[0,1]
	v_mov_b32_e32 v53, v47
	v_pk_add_f32 v[42:43], v[44:45], v[48:49] neg_lo:[0,1] neg_hi:[0,1]
	s_nop 0
	v_pk_add_f32 v[44:45], v[54:55], v[42:43]
	s_nop 0
	v_pk_add_f32 v[48:49], v[44:45], v[44:45] op_sel:[0,1] op_sel_hi:[1,0]
	s_nop 0
	v_pk_add_f32 v[46:47], v[46:47], v[48:49] op_sel:[1,0] op_sel_hi:[0,1]
	v_mov_b32_e32 v45, v46
	v_pk_add_f32 v[50:51], v[44:45], v[52:53] neg_lo:[0,1] neg_hi:[0,1]
	v_mov_b32_e32 v43, v48
	v_sub_f32_e32 v44, v44, v50
	v_pk_add_f32 v[42:43], v[42:43], v[50:51] neg_lo:[0,1] neg_hi:[0,1]
	v_sub_f32_e32 v44, v52, v44
	v_add_f32_e32 v42, v42, v44
	v_add_f32_e32 v42, v42, v43
	;; [unrolled: 1-line block ×3, first 2 shown]
	v_sub_f32_e32 v44, v43, v46
	v_sub_f32_e32 v42, v42, v44
	v_mul_f32_e32 v44, v41, v43
	v_fma_f32 v43, v41, v43, -v44
	v_fmac_f32_e32 v43, v41, v42
	v_add_f32_e32 v42, v44, v43
	v_cmp_class_f32_e64 vcc, v44, s14
	v_sub_f32_e32 v45, v42, v44
	v_sub_f32_e32 v43, v43, v45
	v_cndmask_b32_e32 v42, v42, v44, vcc
	v_cmp_eq_f32_e32 vcc, s16, v42
	s_nop 1
	v_cndmask_b32_e32 v44, 0, v36, vcc
	v_sub_f32_e32 v45, v42, v44
	v_mul_f32_e32 v46, 0x3fb8aa3b, v45
	v_fma_f32 v47, v45, s17, -v46
	v_rndne_f32_e32 v48, v46
	v_fmac_f32_e32 v47, 0x32a5705f, v45
	v_sub_f32_e32 v46, v46, v48
	v_add_f32_e32 v46, v46, v47
	v_exp_f32_e32 v46, v46
	v_cvt_i32_f32_e32 v47, v48
	v_cmp_neq_f32_e64 vcc, |v42|, s15
	s_nop 1
	v_cndmask_b32_e32 v42, 0, v43, vcc
	v_ldexp_f32 v43, v46, v47
	v_cmp_ngt_f32_e32 vcc, s18, v45
	v_add_f32_e32 v42, v44, v42
	s_nop 0
	v_cndmask_b32_e32 v43, 0, v43, vcc
	v_cmp_nlt_f32_e32 vcc, s16, v45
	s_nop 1
	v_cndmask_b32_e32 v43, v37, v43, vcc
	v_fma_f32 v42, v43, v42, v43
	v_cmp_class_f32_e64 vcc, v43, s14
	s_nop 1
	v_cndmask_b32_e32 v42, v42, v43, vcc
	v_trunc_f32_e32 v43, v41
	v_cmp_eq_f32_e32 vcc, v43, v41
	v_mul_f32_e32 v41, 0.5, v41
	v_trunc_f32_e32 v43, v41
	v_cmp_neq_f32_e64 s[0:1], v43, v41
	s_and_b64 s[0:1], vcc, s[0:1]
	s_nop 0
	v_cndmask_b32_e64 v41, 1.0, v30, s[0:1]
	v_bfi_b32 v41, s19, v42, v41
	v_cndmask_b32_e32 v42, v34, v41, vcc
	v_cmp_gt_f32_e32 vcc, 0, v30
	v_cndmask_b32_e64 v43, 0, v30, s[0:1]
	s_nop 0
	v_cndmask_b32_e32 v41, v41, v42, vcc
	v_cmp_eq_f32_e32 vcc, 0, v30
	s_nop 1
	v_cndmask_b32_e64 v42, v37, 0, vcc
	v_bfi_b32 v42, s19, v42, v43
	s_or_b64 vcc, vcc, s[2:3]
	v_cndmask_b32_e32 v41, v41, v42, vcc
	v_fma_f32 v41, v41, s34, 1.0
	v_cmp_o_f32_e32 vcc, v30, v30
	s_add_u32 s6, s6, 1
	s_addc_u32 s7, s7, 0
	v_cndmask_b32_e32 v30, v34, v41, vcc
	s_cmp_lg_u32 s6, 30
	v_fmac_f32_e32 v38, v56, v30
	s_cbranch_scc0 .LBB1_33
.LBB1_29:                               ; =>This Inner Loop Header: Depth=1
	s_set_gpr_idx_on s6, gpr_idx(SRC0)
	v_mov_b32_e32 v30, v0
	s_set_gpr_idx_off
	v_add_f32_e32 v30, -1.0, v30
	v_fma_f32 v30, v30, s20, 1.0
	v_mul_f32_e32 v41, 0x40490e56, v30
	v_and_b32_e32 v42, 0x7fffffff, v41
	v_cmp_nlt_f32_e64 s[0:1], |v41|, s21
                                        ; implicit-def: $vgpr30
                                        ; implicit-def: $vgpr43
	s_and_saveexec_b64 s[2:3], s[0:1]
	s_xor_b64 s[10:11], exec, s[2:3]
	s_cbranch_execz .LBB1_31
; %bb.30:                               ;   in Loop: Header=BB1_29 Depth=1
	v_lshrrev_b32_e32 v30, 23, v42
	v_add_u32_e32 v30, 0xffffff88, v30
	v_cmp_lt_u32_e32 vcc, 63, v30
	s_nop 1
	v_cndmask_b32_e32 v43, 0, v39, vcc
	v_add_u32_e32 v30, v43, v30
	v_cmp_lt_u32_e64 s[0:1], 31, v30
	s_nop 1
	v_cndmask_b32_e64 v43, 0, v40, s[0:1]
	v_add_u32_e32 v30, v43, v30
	v_cmp_lt_u32_e64 s[2:3], 31, v30
	s_nop 1
	v_cndmask_b32_e64 v43, 0, v40, s[2:3]
	v_add_u32_e32 v43, v43, v30
	v_and_b32_e32 v30, 0x7fffff, v42
	v_or_b32_e32 v56, 0x800000, v30
	v_mad_u64_u32 v[44:45], s[4:5], v56, s22, 0
	v_mov_b32_e32 v30, v45
	v_mad_u64_u32 v[46:47], s[4:5], v56, s23, v[30:31]
	v_mov_b32_e32 v30, v47
	;; [unrolled: 2-line block ×6, first 2 shown]
	v_mad_u64_u32 v[56:57], s[4:5], v56, s28, v[30:31]
	v_cndmask_b32_e32 v45, v54, v50, vcc
	v_cndmask_b32_e32 v30, v56, v52, vcc
	;; [unrolled: 1-line block ×3, first 2 shown]
	v_cndmask_b32_e64 v47, v30, v45, s[0:1]
	v_cndmask_b32_e64 v30, v49, v30, s[0:1]
	v_cndmask_b32_e32 v49, v52, v48, vcc
	v_cndmask_b32_e64 v45, v45, v49, s[0:1]
	v_sub_u32_e32 v51, 32, v43
	v_cmp_eq_u32_e64 s[4:5], 0, v43
	v_cndmask_b32_e32 v43, v50, v46, vcc
	v_cndmask_b32_e64 v30, v30, v47, s[2:3]
	v_cndmask_b32_e64 v47, v47, v45, s[2:3]
	;; [unrolled: 1-line block ×3, first 2 shown]
	v_alignbit_b32 v52, v30, v47, v51
	v_cndmask_b32_e64 v45, v45, v46, s[2:3]
	v_cndmask_b32_e64 v30, v52, v30, s[4:5]
	v_alignbit_b32 v49, v47, v45, v51
	v_cndmask_b32_e32 v44, v48, v44, vcc
	v_cndmask_b32_e64 v47, v49, v47, s[4:5]
	v_bfe_u32 v52, v30, 29, 1
	v_cndmask_b32_e64 v43, v43, v44, s[0:1]
	v_alignbit_b32 v49, v30, v47, 30
	v_sub_u32_e32 v53, 0, v52
	v_cndmask_b32_e64 v43, v46, v43, s[2:3]
	v_xor_b32_e32 v49, v49, v53
	v_alignbit_b32 v44, v45, v43, v51
	v_cndmask_b32_e64 v44, v44, v45, s[4:5]
	v_ffbh_u32_e32 v46, v49
	v_alignbit_b32 v45, v47, v44, 30
	v_min_u32_e32 v46, 32, v46
	v_alignbit_b32 v43, v44, v43, 30
	v_xor_b32_e32 v45, v45, v53
	v_sub_u32_e32 v47, 31, v46
	v_xor_b32_e32 v43, v43, v53
	v_alignbit_b32 v48, v49, v45, v47
	v_alignbit_b32 v43, v45, v43, v47
	v_alignbit_b32 v44, v48, v43, 9
	v_ffbh_u32_e32 v45, v44
	v_min_u32_e32 v45, 32, v45
	v_lshrrev_b32_e32 v50, 29, v30
	v_not_b32_e32 v47, v45
	v_alignbit_b32 v43, v44, v43, v47
	v_lshlrev_b32_e32 v44, 31, v50
	v_or_b32_e32 v47, 0x33000000, v44
	v_add_lshl_u32 v45, v45, v46, 23
	v_lshrrev_b32_e32 v43, 9, v43
	v_sub_u32_e32 v45, v47, v45
	v_or_b32_e32 v44, 0.5, v44
	v_lshlrev_b32_e32 v46, 23, v46
	v_or_b32_e32 v43, v45, v43
	v_lshrrev_b32_e32 v45, 9, v48
	v_sub_u32_e32 v44, v44, v46
	v_or_b32_e32 v44, v45, v44
	v_mul_f32_e32 v45, 0x3fc90fda, v44
	v_fma_f32 v46, v44, s29, -v45
	v_fmac_f32_e32 v46, 0x33a22168, v44
	v_fmac_f32_e32 v46, 0x3fc90fda, v43
	v_lshrrev_b32_e32 v30, 30, v30
	v_add_f32_e32 v43, v45, v46
	v_add_u32_e32 v30, v52, v30
.LBB1_31:                               ;   in Loop: Header=BB1_29 Depth=1
	s_andn2_saveexec_b64 s[0:1], s[10:11]
	s_cbranch_execz .LBB1_28
; %bb.32:                               ;   in Loop: Header=BB1_29 Depth=1
	v_mul_f32_e64 v30, |v41|, s30
	v_rndne_f32_e32 v44, v30
	v_cvt_i32_f32_e32 v30, v44
	v_fma_f32 v43, v44, s31, |v41|
	v_fmac_f32_e32 v43, 0xb3a22168, v44
	v_fmac_f32_e32 v43, 0xa7c234c4, v44
	s_branch .LBB1_28
.LBB1_33:
	s_mov_b32 s0, 0x43020000
	v_cmp_gt_f32_e32 vcc, s0, v38
	s_and_b64 exec, exec, vcc
	s_cbranch_execz .LBB1_154
; %bb.34:
	s_mov_b64 s[0:1], exec
	v_bfrev_b32_e32 v30, 1
.LBB1_35:                               ; =>This Inner Loop Header: Depth=1
	s_ff1_i32_b64 s2, s[0:1]
	v_readlane_b32 s4, v0, s2
	s_lshl_b64 s[2:3], 1, s2
	s_andn2_b64 s[0:1], s[0:1], s[2:3]
	s_cmp_lg_u64 s[0:1], 0
	v_add_f32_e32 v30, s4, v30
	s_cbranch_scc1 .LBB1_35
; %bb.36:
	v_mbcnt_lo_u32_b32 v0, exec_lo, 0
	v_mbcnt_hi_u32_b32 v0, exec_hi, v0
	v_cmp_eq_u32_e32 vcc, 0, v0
	s_and_saveexec_b64 s[0:1], vcc
	s_xor_b64 s[0:1], exec, s[0:1]
	s_cbranch_execz .LBB1_38
; %bb.37:
	v_mov_b32_e32 v0, 0
	s_waitcnt lgkmcnt(0)
	global_atomic_add_f32 v0, v30, s[8:9]
.LBB1_38:
	s_or_b64 exec, exec, s[0:1]
	s_mov_b64 s[0:1], exec
	v_bfrev_b32_e32 v0, 1
.LBB1_39:                               ; =>This Inner Loop Header: Depth=1
	s_ff1_i32_b64 s2, s[0:1]
	v_readlane_b32 s4, v1, s2
	s_lshl_b64 s[2:3], 1, s2
	s_andn2_b64 s[0:1], s[0:1], s[2:3]
	s_cmp_lg_u64 s[0:1], 0
	v_add_f32_e32 v0, s4, v0
	s_cbranch_scc1 .LBB1_39
; %bb.40:
	v_mbcnt_lo_u32_b32 v1, exec_lo, 0
	v_mbcnt_hi_u32_b32 v1, exec_hi, v1
	v_cmp_eq_u32_e32 vcc, 0, v1
	s_and_saveexec_b64 s[0:1], vcc
	s_xor_b64 s[0:1], exec, s[0:1]
	s_cbranch_execz .LBB1_42
; %bb.41:
	v_mov_b32_e32 v1, 0
	s_waitcnt lgkmcnt(0)
	global_atomic_add_f32 v1, v0, s[8:9] offset:4
.LBB1_42:
	s_or_b64 exec, exec, s[0:1]
	s_mov_b64 s[0:1], exec
	v_bfrev_b32_e32 v0, 1
.LBB1_43:                               ; =>This Inner Loop Header: Depth=1
	s_ff1_i32_b64 s2, s[0:1]
	v_readlane_b32 s4, v2, s2
	s_lshl_b64 s[2:3], 1, s2
	s_andn2_b64 s[0:1], s[0:1], s[2:3]
	s_cmp_lg_u64 s[0:1], 0
	v_add_f32_e32 v0, s4, v0
	s_cbranch_scc1 .LBB1_43
; %bb.44:
	v_mbcnt_lo_u32_b32 v1, exec_lo, 0
	v_mbcnt_hi_u32_b32 v1, exec_hi, v1
	v_cmp_eq_u32_e32 vcc, 0, v1
	s_and_saveexec_b64 s[0:1], vcc
	s_xor_b64 s[0:1], exec, s[0:1]
	s_cbranch_execz .LBB1_46
; %bb.45:
	v_mov_b32_e32 v1, 0
	s_waitcnt lgkmcnt(0)
	global_atomic_add_f32 v1, v0, s[8:9] offset:8
.LBB1_46:
	;; [unrolled: 23-line block ×16, first 2 shown]
	s_or_b64 exec, exec, s[0:1]
	s_mov_b64 s[0:1], exec
	v_bfrev_b32_e32 v0, 1
.LBB1_103:                              ; =>This Inner Loop Header: Depth=1
	s_ff1_i32_b64 s2, s[0:1]
	v_readlane_b32 s4, v17, s2
	s_lshl_b64 s[2:3], 1, s2
	s_andn2_b64 s[0:1], s[0:1], s[2:3]
	s_cmp_lg_u64 s[0:1], 0
	v_add_f32_e32 v0, s4, v0
	s_cbranch_scc1 .LBB1_103
; %bb.104:
	v_mbcnt_lo_u32_b32 v1, exec_lo, 0
	v_mbcnt_hi_u32_b32 v1, exec_hi, v1
	v_cmp_eq_u32_e32 vcc, 0, v1
	s_and_saveexec_b64 s[0:1], vcc
	s_xor_b64 s[0:1], exec, s[0:1]
	s_cbranch_execz .LBB1_106
; %bb.105:
	v_mov_b32_e32 v1, 0
	s_waitcnt lgkmcnt(0)
	global_atomic_add_f32 v1, v0, s[8:9] offset:68
.LBB1_106:
	s_or_b64 exec, exec, s[0:1]
	s_mov_b64 s[0:1], exec
	v_bfrev_b32_e32 v0, 1
.LBB1_107:                              ; =>This Inner Loop Header: Depth=1
	s_ff1_i32_b64 s2, s[0:1]
	v_readlane_b32 s4, v18, s2
	s_lshl_b64 s[2:3], 1, s2
	s_andn2_b64 s[0:1], s[0:1], s[2:3]
	s_cmp_lg_u64 s[0:1], 0
	v_add_f32_e32 v0, s4, v0
	s_cbranch_scc1 .LBB1_107
; %bb.108:
	v_mbcnt_lo_u32_b32 v1, exec_lo, 0
	v_mbcnt_hi_u32_b32 v1, exec_hi, v1
	v_cmp_eq_u32_e32 vcc, 0, v1
	s_and_saveexec_b64 s[0:1], vcc
	s_xor_b64 s[0:1], exec, s[0:1]
	s_cbranch_execz .LBB1_110
; %bb.109:
	v_mov_b32_e32 v1, 0
	s_waitcnt lgkmcnt(0)
	global_atomic_add_f32 v1, v0, s[8:9] offset:72
.LBB1_110:
	s_or_b64 exec, exec, s[0:1]
	s_mov_b64 s[0:1], exec
	v_bfrev_b32_e32 v0, 1
.LBB1_111:                              ; =>This Inner Loop Header: Depth=1
	s_ff1_i32_b64 s2, s[0:1]
	v_readlane_b32 s4, v19, s2
	s_lshl_b64 s[2:3], 1, s2
	s_andn2_b64 s[0:1], s[0:1], s[2:3]
	s_cmp_lg_u64 s[0:1], 0
	v_add_f32_e32 v0, s4, v0
	s_cbranch_scc1 .LBB1_111
; %bb.112:
	v_mbcnt_lo_u32_b32 v1, exec_lo, 0
	v_mbcnt_hi_u32_b32 v1, exec_hi, v1
	v_cmp_eq_u32_e32 vcc, 0, v1
	s_and_saveexec_b64 s[0:1], vcc
	s_xor_b64 s[0:1], exec, s[0:1]
	s_cbranch_execz .LBB1_114
; %bb.113:
	v_mov_b32_e32 v1, 0
	s_waitcnt lgkmcnt(0)
	global_atomic_add_f32 v1, v0, s[8:9] offset:76
.LBB1_114:
	s_or_b64 exec, exec, s[0:1]
	s_mov_b64 s[0:1], exec
	v_bfrev_b32_e32 v0, 1
.LBB1_115:                              ; =>This Inner Loop Header: Depth=1
	s_ff1_i32_b64 s2, s[0:1]
	v_readlane_b32 s4, v20, s2
	s_lshl_b64 s[2:3], 1, s2
	s_andn2_b64 s[0:1], s[0:1], s[2:3]
	s_cmp_lg_u64 s[0:1], 0
	v_add_f32_e32 v0, s4, v0
	s_cbranch_scc1 .LBB1_115
; %bb.116:
	v_mbcnt_lo_u32_b32 v1, exec_lo, 0
	v_mbcnt_hi_u32_b32 v1, exec_hi, v1
	v_cmp_eq_u32_e32 vcc, 0, v1
	s_and_saveexec_b64 s[0:1], vcc
	s_xor_b64 s[0:1], exec, s[0:1]
	s_cbranch_execz .LBB1_118
; %bb.117:
	v_mov_b32_e32 v1, 0
	s_waitcnt lgkmcnt(0)
	global_atomic_add_f32 v1, v0, s[8:9] offset:80
.LBB1_118:
	;; [unrolled: 46-line block ×6, first 2 shown]
	s_or_b64 exec, exec, s[0:1]
	s_mov_b64 s[0:1], exec
	v_bfrev_b32_e32 v0, 1
.LBB1_151:                              ; =>This Inner Loop Header: Depth=1
	s_ff1_i32_b64 s2, s[0:1]
	v_readlane_b32 s4, v29, s2
	s_lshl_b64 s[2:3], 1, s2
	s_andn2_b64 s[0:1], s[0:1], s[2:3]
	s_cmp_lg_u64 s[0:1], 0
	v_add_f32_e32 v0, s4, v0
	s_cbranch_scc1 .LBB1_151
; %bb.152:
	v_mbcnt_lo_u32_b32 v1, exec_lo, 0
	v_mbcnt_hi_u32_b32 v1, exec_hi, v1
	v_cmp_eq_u32_e32 vcc, 0, v1
	s_and_saveexec_b64 s[0:1], vcc
	s_xor_b64 s[0:1], exec, s[0:1]
	s_cbranch_execz .LBB1_154
; %bb.153:
	v_mov_b32_e32 v1, 0
	s_waitcnt lgkmcnt(0)
	global_atomic_add_f32 v1, v0, s[8:9] offset:116
.LBB1_154:
	s_endpgm
	.section	.rodata,"a",@progbits
	.p2align	6, 0x0
	.amdhsa_kernel _Z17kernelUpdatePBestPKfPfS1_i
		.amdhsa_group_segment_fixed_size 0
		.amdhsa_private_segment_fixed_size 0
		.amdhsa_kernarg_size 288
		.amdhsa_user_sgpr_count 2
		.amdhsa_user_sgpr_dispatch_ptr 0
		.amdhsa_user_sgpr_queue_ptr 0
		.amdhsa_user_sgpr_kernarg_segment_ptr 1
		.amdhsa_user_sgpr_dispatch_id 0
		.amdhsa_user_sgpr_kernarg_preload_length 0
		.amdhsa_user_sgpr_kernarg_preload_offset 0
		.amdhsa_user_sgpr_private_segment_size 0
		.amdhsa_uses_dynamic_stack 0
		.amdhsa_enable_private_segment 0
		.amdhsa_system_sgpr_workgroup_id_x 1
		.amdhsa_system_sgpr_workgroup_id_y 0
		.amdhsa_system_sgpr_workgroup_id_z 0
		.amdhsa_system_sgpr_workgroup_info 0
		.amdhsa_system_vgpr_workitem_id 0
		.amdhsa_next_free_vgpr 96
		.amdhsa_next_free_sgpr 39
		.amdhsa_accum_offset 96
		.amdhsa_reserve_vcc 1
		.amdhsa_float_round_mode_32 0
		.amdhsa_float_round_mode_16_64 0
		.amdhsa_float_denorm_mode_32 3
		.amdhsa_float_denorm_mode_16_64 3
		.amdhsa_dx10_clamp 1
		.amdhsa_ieee_mode 1
		.amdhsa_fp16_overflow 0
		.amdhsa_tg_split 0
		.amdhsa_exception_fp_ieee_invalid_op 0
		.amdhsa_exception_fp_denorm_src 0
		.amdhsa_exception_fp_ieee_div_zero 0
		.amdhsa_exception_fp_ieee_overflow 0
		.amdhsa_exception_fp_ieee_underflow 0
		.amdhsa_exception_fp_ieee_inexact 0
		.amdhsa_exception_int_div_zero 0
	.end_amdhsa_kernel
	.text
.Lfunc_end1:
	.size	_Z17kernelUpdatePBestPKfPfS1_i, .Lfunc_end1-_Z17kernelUpdatePBestPKfPfS1_i
                                        ; -- End function
	.set _Z17kernelUpdatePBestPKfPfS1_i.num_vgpr, 96
	.set _Z17kernelUpdatePBestPKfPfS1_i.num_agpr, 0
	.set _Z17kernelUpdatePBestPKfPfS1_i.numbered_sgpr, 39
	.set _Z17kernelUpdatePBestPKfPfS1_i.num_named_barrier, 0
	.set _Z17kernelUpdatePBestPKfPfS1_i.private_seg_size, 0
	.set _Z17kernelUpdatePBestPKfPfS1_i.uses_vcc, 1
	.set _Z17kernelUpdatePBestPKfPfS1_i.uses_flat_scratch, 0
	.set _Z17kernelUpdatePBestPKfPfS1_i.has_dyn_sized_stack, 0
	.set _Z17kernelUpdatePBestPKfPfS1_i.has_recursion, 0
	.set _Z17kernelUpdatePBestPKfPfS1_i.has_indirect_call, 0
	.section	.AMDGPU.csdata,"",@progbits
; Kernel info:
; codeLenInByte = 19528
; TotalNumSgprs: 45
; NumVgprs: 96
; NumAgprs: 0
; TotalNumVgprs: 96
; ScratchSize: 0
; MemoryBound: 1
; FloatMode: 240
; IeeeMode: 1
; LDSByteSize: 0 bytes/workgroup (compile time only)
; SGPRBlocks: 5
; VGPRBlocks: 11
; NumSGPRsForWavesPerEU: 45
; NumVGPRsForWavesPerEU: 96
; AccumOffset: 96
; Occupancy: 5
; WaveLimiterHint : 0
; COMPUTE_PGM_RSRC2:SCRATCH_EN: 0
; COMPUTE_PGM_RSRC2:USER_SGPR: 2
; COMPUTE_PGM_RSRC2:TRAP_HANDLER: 0
; COMPUTE_PGM_RSRC2:TGID_X_EN: 1
; COMPUTE_PGM_RSRC2:TGID_Y_EN: 0
; COMPUTE_PGM_RSRC2:TGID_Z_EN: 0
; COMPUTE_PGM_RSRC2:TIDIG_COMP_CNT: 0
; COMPUTE_PGM_RSRC3_GFX90A:ACCUM_OFFSET: 23
; COMPUTE_PGM_RSRC3_GFX90A:TG_SPLIT: 0
	.text
	.p2alignl 6, 3212836864
	.fill 256, 4, 3212836864
	.section	.AMDGPU.gpr_maximums,"",@progbits
	.set amdgpu.max_num_vgpr, 0
	.set amdgpu.max_num_agpr, 0
	.set amdgpu.max_num_sgpr, 0
	.text
	.type	__hip_cuid_1da103a10b813d89,@object ; @__hip_cuid_1da103a10b813d89
	.section	.bss,"aw",@nobits
	.globl	__hip_cuid_1da103a10b813d89
__hip_cuid_1da103a10b813d89:
	.byte	0                               ; 0x0
	.size	__hip_cuid_1da103a10b813d89, 1

	.ident	"AMD clang version 22.0.0git (https://github.com/RadeonOpenCompute/llvm-project roc-7.2.4 26084 f58b06dce1f9c15707c5f808fd002e18c2accf7e)"
	.section	".note.GNU-stack","",@progbits
	.addrsig
	.addrsig_sym __hip_cuid_1da103a10b813d89
	.amdgpu_metadata
---
amdhsa.kernels:
  - .agpr_count:     0
    .args:
      - .address_space:  global
        .offset:         0
        .size:           8
        .value_kind:     global_buffer
      - .address_space:  global
        .offset:         8
        .size:           8
        .value_kind:     global_buffer
      - .actual_access:  read_only
        .address_space:  global
        .offset:         16
        .size:           8
        .value_kind:     global_buffer
      - .actual_access:  read_only
        .address_space:  global
        .offset:         24
        .size:           8
        .value_kind:     global_buffer
      - .offset:         32
        .size:           4
        .value_kind:     by_value
      - .offset:         36
        .size:           4
        .value_kind:     by_value
      - .offset:         40
        .size:           4
        .value_kind:     by_value
      - .offset:         48
        .size:           4
        .value_kind:     hidden_block_count_x
      - .offset:         52
        .size:           4
        .value_kind:     hidden_block_count_y
      - .offset:         56
        .size:           4
        .value_kind:     hidden_block_count_z
      - .offset:         60
        .size:           2
        .value_kind:     hidden_group_size_x
      - .offset:         62
        .size:           2
        .value_kind:     hidden_group_size_y
      - .offset:         64
        .size:           2
        .value_kind:     hidden_group_size_z
      - .offset:         66
        .size:           2
        .value_kind:     hidden_remainder_x
      - .offset:         68
        .size:           2
        .value_kind:     hidden_remainder_y
      - .offset:         70
        .size:           2
        .value_kind:     hidden_remainder_z
      - .offset:         88
        .size:           8
        .value_kind:     hidden_global_offset_x
      - .offset:         96
        .size:           8
        .value_kind:     hidden_global_offset_y
      - .offset:         104
        .size:           8
        .value_kind:     hidden_global_offset_z
      - .offset:         112
        .size:           2
        .value_kind:     hidden_grid_dims
    .group_segment_fixed_size: 0
    .kernarg_segment_align: 8
    .kernarg_segment_size: 304
    .language:       OpenCL C
    .language_version:
      - 2
      - 0
    .max_flat_workgroup_size: 1024
    .name:           _Z20kernelUpdateParticlePfS_PKfS1_iff
    .private_segment_fixed_size: 0
    .sgpr_count:     22
    .sgpr_spill_count: 0
    .symbol:         _Z20kernelUpdateParticlePfS_PKfS1_iff.kd
    .uniform_work_group_size: 1
    .uses_dynamic_stack: false
    .vgpr_count:     12
    .vgpr_spill_count: 0
    .wavefront_size: 64
  - .agpr_count:     0
    .args:
      - .actual_access:  read_only
        .address_space:  global
        .offset:         0
        .size:           8
        .value_kind:     global_buffer
      - .address_space:  global
        .offset:         8
        .size:           8
        .value_kind:     global_buffer
      - .address_space:  global
        .offset:         16
        .size:           8
        .value_kind:     global_buffer
      - .offset:         24
        .size:           4
        .value_kind:     by_value
      - .offset:         32
        .size:           4
        .value_kind:     hidden_block_count_x
      - .offset:         36
        .size:           4
        .value_kind:     hidden_block_count_y
      - .offset:         40
        .size:           4
        .value_kind:     hidden_block_count_z
      - .offset:         44
        .size:           2
        .value_kind:     hidden_group_size_x
      - .offset:         46
        .size:           2
        .value_kind:     hidden_group_size_y
      - .offset:         48
        .size:           2
        .value_kind:     hidden_group_size_z
      - .offset:         50
        .size:           2
        .value_kind:     hidden_remainder_x
      - .offset:         52
        .size:           2
        .value_kind:     hidden_remainder_y
      - .offset:         54
        .size:           2
        .value_kind:     hidden_remainder_z
      - .offset:         72
        .size:           8
        .value_kind:     hidden_global_offset_x
      - .offset:         80
        .size:           8
        .value_kind:     hidden_global_offset_y
      - .offset:         88
        .size:           8
        .value_kind:     hidden_global_offset_z
      - .offset:         96
        .size:           2
        .value_kind:     hidden_grid_dims
    .group_segment_fixed_size: 0
    .kernarg_segment_align: 8
    .kernarg_segment_size: 288
    .language:       OpenCL C
    .language_version:
      - 2
      - 0
    .max_flat_workgroup_size: 1024
    .name:           _Z17kernelUpdatePBestPKfPfS1_i
    .private_segment_fixed_size: 0
    .sgpr_count:     45
    .sgpr_spill_count: 0
    .symbol:         _Z17kernelUpdatePBestPKfPfS1_i.kd
    .uniform_work_group_size: 1
    .uses_dynamic_stack: false
    .vgpr_count:     96
    .vgpr_spill_count: 0
    .wavefront_size: 64
amdhsa.target:   amdgcn-amd-amdhsa--gfx950
amdhsa.version:
  - 1
  - 2
...

	.end_amdgpu_metadata
